;; amdgpu-corpus repo=ROCm/rocFFT kind=compiled arch=gfx950 opt=O3
	.text
	.amdgcn_target "amdgcn-amd-amdhsa--gfx950"
	.amdhsa_code_object_version 6
	.protected	fft_rtc_fwd_len3240_factors_3_3_10_6_6_wgs_108_tpt_108_halfLds_sp_op_CI_CI_unitstride_sbrr_C2R_dirReg ; -- Begin function fft_rtc_fwd_len3240_factors_3_3_10_6_6_wgs_108_tpt_108_halfLds_sp_op_CI_CI_unitstride_sbrr_C2R_dirReg
	.globl	fft_rtc_fwd_len3240_factors_3_3_10_6_6_wgs_108_tpt_108_halfLds_sp_op_CI_CI_unitstride_sbrr_C2R_dirReg
	.p2align	8
	.type	fft_rtc_fwd_len3240_factors_3_3_10_6_6_wgs_108_tpt_108_halfLds_sp_op_CI_CI_unitstride_sbrr_C2R_dirReg,@function
fft_rtc_fwd_len3240_factors_3_3_10_6_6_wgs_108_tpt_108_halfLds_sp_op_CI_CI_unitstride_sbrr_C2R_dirReg: ; @fft_rtc_fwd_len3240_factors_3_3_10_6_6_wgs_108_tpt_108_halfLds_sp_op_CI_CI_unitstride_sbrr_C2R_dirReg
; %bb.0:
	s_load_dwordx4 s[4:7], s[0:1], 0x58
	s_load_dwordx4 s[8:11], s[0:1], 0x0
	;; [unrolled: 1-line block ×3, first 2 shown]
	v_mul_u32_u24_e32 v1, 0x25f, v0
	v_add_u32_sdwa v6, s2, v1 dst_sel:DWORD dst_unused:UNUSED_PAD src0_sel:DWORD src1_sel:WORD_1
	v_mov_b32_e32 v4, 0
	s_waitcnt lgkmcnt(0)
	v_cmp_lt_u64_e64 s[2:3], s[10:11], 2
	v_mov_b32_e32 v7, v4
	s_and_b64 vcc, exec, s[2:3]
	v_mov_b64_e32 v[2:3], 0
	s_cbranch_vccnz .LBB0_8
; %bb.1:
	s_load_dwordx2 s[2:3], s[0:1], 0x10
	s_add_u32 s16, s14, 8
	s_addc_u32 s17, s15, 0
	s_add_u32 s18, s12, 8
	s_addc_u32 s19, s13, 0
	s_waitcnt lgkmcnt(0)
	s_add_u32 s20, s2, 8
	v_mov_b64_e32 v[2:3], 0
	s_addc_u32 s21, s3, 0
	s_mov_b64 s[22:23], 1
	v_mov_b64_e32 v[16:17], v[2:3]
.LBB0_2:                                ; =>This Inner Loop Header: Depth=1
	s_load_dwordx2 s[24:25], s[20:21], 0x0
                                        ; implicit-def: $vgpr20_vgpr21
	s_waitcnt lgkmcnt(0)
	v_or_b32_e32 v5, s25, v7
	v_cmp_ne_u64_e32 vcc, 0, v[4:5]
	s_and_saveexec_b64 s[2:3], vcc
	s_xor_b64 s[26:27], exec, s[2:3]
	s_cbranch_execz .LBB0_4
; %bb.3:                                ;   in Loop: Header=BB0_2 Depth=1
	v_cvt_f32_u32_e32 v1, s24
	v_cvt_f32_u32_e32 v5, s25
	s_sub_u32 s2, 0, s24
	s_subb_u32 s3, 0, s25
	v_fmac_f32_e32 v1, 0x4f800000, v5
	v_rcp_f32_e32 v1, v1
	s_nop 0
	v_mul_f32_e32 v1, 0x5f7ffffc, v1
	v_mul_f32_e32 v5, 0x2f800000, v1
	v_trunc_f32_e32 v5, v5
	v_fmac_f32_e32 v1, 0xcf800000, v5
	v_cvt_u32_f32_e32 v5, v5
	v_cvt_u32_f32_e32 v1, v1
	v_mul_lo_u32 v8, s2, v5
	v_mul_hi_u32 v10, s2, v1
	v_mul_lo_u32 v9, s3, v1
	v_add_u32_e32 v10, v10, v8
	v_mul_lo_u32 v12, s2, v1
	v_add_u32_e32 v13, v10, v9
	v_mul_hi_u32 v8, v1, v12
	v_mul_hi_u32 v11, v1, v13
	v_mul_lo_u32 v10, v1, v13
	v_mov_b32_e32 v9, v4
	v_lshl_add_u64 v[8:9], v[8:9], 0, v[10:11]
	v_mul_hi_u32 v11, v5, v12
	v_mul_lo_u32 v12, v5, v12
	v_add_co_u32_e32 v8, vcc, v8, v12
	v_mul_hi_u32 v10, v5, v13
	s_nop 0
	v_addc_co_u32_e32 v8, vcc, v9, v11, vcc
	v_mov_b32_e32 v9, v4
	s_nop 0
	v_addc_co_u32_e32 v11, vcc, 0, v10, vcc
	v_mul_lo_u32 v10, v5, v13
	v_lshl_add_u64 v[8:9], v[8:9], 0, v[10:11]
	v_add_co_u32_e32 v1, vcc, v1, v8
	v_mul_lo_u32 v10, s2, v1
	s_nop 0
	v_addc_co_u32_e32 v5, vcc, v5, v9, vcc
	v_mul_lo_u32 v8, s2, v5
	v_mul_hi_u32 v9, s2, v1
	v_add_u32_e32 v8, v9, v8
	v_mul_lo_u32 v9, s3, v1
	v_add_u32_e32 v12, v8, v9
	v_mul_hi_u32 v14, v5, v10
	v_mul_lo_u32 v15, v5, v10
	v_mul_hi_u32 v9, v1, v12
	v_mul_lo_u32 v8, v1, v12
	v_mul_hi_u32 v10, v1, v10
	v_mov_b32_e32 v11, v4
	v_lshl_add_u64 v[8:9], v[10:11], 0, v[8:9]
	v_add_co_u32_e32 v8, vcc, v8, v15
	v_mul_hi_u32 v13, v5, v12
	s_nop 0
	v_addc_co_u32_e32 v8, vcc, v9, v14, vcc
	v_mul_lo_u32 v10, v5, v12
	s_nop 0
	v_addc_co_u32_e32 v11, vcc, 0, v13, vcc
	v_mov_b32_e32 v9, v4
	v_lshl_add_u64 v[8:9], v[8:9], 0, v[10:11]
	v_add_co_u32_e32 v1, vcc, v1, v8
	v_mul_hi_u32 v10, v6, v1
	s_nop 0
	v_addc_co_u32_e32 v5, vcc, v5, v9, vcc
	v_mad_u64_u32 v[8:9], s[2:3], v6, v5, 0
	v_mov_b32_e32 v11, v4
	v_lshl_add_u64 v[8:9], v[10:11], 0, v[8:9]
	v_mad_u64_u32 v[12:13], s[2:3], v7, v1, 0
	v_add_co_u32_e32 v1, vcc, v8, v12
	v_mad_u64_u32 v[10:11], s[2:3], v7, v5, 0
	s_nop 0
	v_addc_co_u32_e32 v8, vcc, v9, v13, vcc
	v_mov_b32_e32 v9, v4
	s_nop 0
	v_addc_co_u32_e32 v11, vcc, 0, v11, vcc
	v_lshl_add_u64 v[8:9], v[8:9], 0, v[10:11]
	v_mul_lo_u32 v1, s25, v8
	v_mul_lo_u32 v5, s24, v9
	v_mad_u64_u32 v[10:11], s[2:3], s24, v8, 0
	v_add3_u32 v1, v11, v5, v1
	v_sub_u32_e32 v5, v7, v1
	v_mov_b32_e32 v11, s25
	v_sub_co_u32_e32 v14, vcc, v6, v10
	v_lshl_add_u64 v[12:13], v[8:9], 0, 1
	s_nop 0
	v_subb_co_u32_e64 v5, s[2:3], v5, v11, vcc
	v_subrev_co_u32_e64 v10, s[2:3], s24, v14
	v_subb_co_u32_e32 v1, vcc, v7, v1, vcc
	s_nop 0
	v_subbrev_co_u32_e64 v5, s[2:3], 0, v5, s[2:3]
	v_cmp_le_u32_e64 s[2:3], s25, v5
	v_cmp_le_u32_e32 vcc, s25, v1
	s_nop 0
	v_cndmask_b32_e64 v11, 0, -1, s[2:3]
	v_cmp_le_u32_e64 s[2:3], s24, v10
	s_nop 1
	v_cndmask_b32_e64 v10, 0, -1, s[2:3]
	v_cmp_eq_u32_e64 s[2:3], s25, v5
	s_nop 1
	v_cndmask_b32_e64 v5, v11, v10, s[2:3]
	v_lshl_add_u64 v[10:11], v[8:9], 0, 2
	v_cmp_ne_u32_e64 s[2:3], 0, v5
	s_nop 1
	v_cndmask_b32_e64 v5, v13, v11, s[2:3]
	v_cndmask_b32_e64 v11, 0, -1, vcc
	v_cmp_le_u32_e32 vcc, s24, v14
	s_nop 1
	v_cndmask_b32_e64 v13, 0, -1, vcc
	v_cmp_eq_u32_e32 vcc, s25, v1
	s_nop 1
	v_cndmask_b32_e32 v1, v11, v13, vcc
	v_cmp_ne_u32_e32 vcc, 0, v1
	v_cndmask_b32_e64 v1, v12, v10, s[2:3]
	s_nop 0
	v_cndmask_b32_e32 v21, v9, v5, vcc
	v_cndmask_b32_e32 v20, v8, v1, vcc
.LBB0_4:                                ;   in Loop: Header=BB0_2 Depth=1
	s_andn2_saveexec_b64 s[2:3], s[26:27]
	s_cbranch_execz .LBB0_6
; %bb.5:                                ;   in Loop: Header=BB0_2 Depth=1
	v_cvt_f32_u32_e32 v1, s24
	s_sub_i32 s26, 0, s24
	v_mov_b32_e32 v21, v4
	v_rcp_iflag_f32_e32 v1, v1
	s_nop 0
	v_mul_f32_e32 v1, 0x4f7ffffe, v1
	v_cvt_u32_f32_e32 v1, v1
	v_mul_lo_u32 v5, s26, v1
	v_mul_hi_u32 v5, v1, v5
	v_add_u32_e32 v1, v1, v5
	v_mul_hi_u32 v1, v6, v1
	v_mul_lo_u32 v5, v1, s24
	v_sub_u32_e32 v5, v6, v5
	v_add_u32_e32 v8, 1, v1
	v_subrev_u32_e32 v9, s24, v5
	v_cmp_le_u32_e32 vcc, s24, v5
	s_nop 1
	v_cndmask_b32_e32 v5, v5, v9, vcc
	v_cndmask_b32_e32 v1, v1, v8, vcc
	v_add_u32_e32 v8, 1, v1
	v_cmp_le_u32_e32 vcc, s24, v5
	s_nop 1
	v_cndmask_b32_e32 v20, v1, v8, vcc
.LBB0_6:                                ;   in Loop: Header=BB0_2 Depth=1
	s_or_b64 exec, exec, s[2:3]
	v_mad_u64_u32 v[8:9], s[2:3], v20, s24, 0
	s_load_dwordx2 s[2:3], s[18:19], 0x0
	v_mul_lo_u32 v1, v21, s24
	v_mul_lo_u32 v5, v20, s25
	s_load_dwordx2 s[24:25], s[16:17], 0x0
	s_add_u32 s22, s22, 1
	v_add3_u32 v1, v9, v5, v1
	v_sub_co_u32_e32 v5, vcc, v6, v8
	s_addc_u32 s23, s23, 0
	s_nop 0
	v_subb_co_u32_e32 v1, vcc, v7, v1, vcc
	s_add_u32 s16, s16, 8
	s_waitcnt lgkmcnt(0)
	v_mul_lo_u32 v6, s2, v1
	v_mul_lo_u32 v7, s3, v5
	v_mad_u64_u32 v[2:3], s[2:3], s2, v5, v[2:3]
	s_addc_u32 s17, s17, 0
	v_add3_u32 v3, v7, v3, v6
	v_mul_lo_u32 v1, s24, v1
	v_mul_lo_u32 v6, s25, v5
	v_mad_u64_u32 v[16:17], s[2:3], s24, v5, v[16:17]
	s_add_u32 s18, s18, 8
	v_add3_u32 v17, v6, v17, v1
	s_addc_u32 s19, s19, 0
	v_mov_b64_e32 v[6:7], s[10:11]
	s_add_u32 s20, s20, 8
	v_cmp_ge_u64_e32 vcc, s[22:23], v[6:7]
	s_addc_u32 s21, s21, 0
	s_cbranch_vccnz .LBB0_9
; %bb.7:                                ;   in Loop: Header=BB0_2 Depth=1
	v_mov_b64_e32 v[6:7], v[20:21]
	s_branch .LBB0_2
.LBB0_8:
	v_mov_b64_e32 v[16:17], v[2:3]
	v_mov_b64_e32 v[20:21], v[6:7]
.LBB0_9:
	s_load_dwordx2 s[18:19], s[0:1], 0x28
	s_lshl_b64 s[16:17], s[10:11], 3
	s_add_u32 s2, s14, s16
	s_addc_u32 s3, s15, s17
                                        ; implicit-def: $vgpr18
	s_waitcnt lgkmcnt(0)
	v_cmp_gt_u64_e64 s[0:1], s[18:19], v[20:21]
	v_cmp_le_u64_e32 vcc, s[18:19], v[20:21]
	s_and_saveexec_b64 s[10:11], vcc
	s_xor_b64 s[10:11], exec, s[10:11]
; %bb.10:
	s_mov_b32 s14, 0x25ed098
	v_mul_hi_u32 v1, v0, s14
	v_mul_u32_u24_e32 v1, 0x6c, v1
	v_sub_u32_e32 v18, v0, v1
                                        ; implicit-def: $vgpr0
                                        ; implicit-def: $vgpr2_vgpr3
; %bb.11:
	s_or_saveexec_b64 s[10:11], s[10:11]
	s_load_dwordx2 s[2:3], s[2:3], 0x0
	s_xor_b64 exec, exec, s[10:11]
	s_cbranch_execz .LBB0_15
; %bb.12:
	s_add_u32 s12, s12, s16
	s_addc_u32 s13, s13, s17
	s_load_dwordx2 s[12:13], s[12:13], 0x0
	s_mov_b32 s14, 0x25ed098
	s_waitcnt lgkmcnt(0)
	v_mul_lo_u32 v1, s13, v20
	v_mul_lo_u32 v6, s12, v21
	v_mad_u64_u32 v[4:5], s[12:13], s12, v20, 0
	v_add3_u32 v5, v5, v6, v1
	v_mul_hi_u32 v1, v0, s14
	v_mul_u32_u24_e32 v1, 0x6c, v1
	v_sub_u32_e32 v18, v0, v1
	v_lshl_add_u64 v[0:1], v[4:5], 3, s[4:5]
	v_lshl_add_u64 v[2:3], v[2:3], 3, v[0:1]
	v_lshlrev_b32_e32 v0, 3, v18
	v_mov_b32_e32 v1, 0
	v_lshl_add_u64 v[4:5], v[2:3], 0, v[0:1]
	s_movk_i32 s4, 0x1000
	v_add_co_u32_e32 v8, vcc, s4, v4
	s_movk_i32 s4, 0x2000
	s_nop 0
	v_addc_co_u32_e32 v9, vcc, 0, v5, vcc
	v_add_co_u32_e32 v30, vcc, s4, v4
	s_movk_i32 s5, 0x3000
	s_nop 0
	v_addc_co_u32_e32 v31, vcc, 0, v5, vcc
	v_add_co_u32_e32 v32, vcc, s5, v4
	global_load_dwordx2 v[6:7], v[4:5], off offset:2592
	global_load_dwordx2 v[10:11], v[4:5], off offset:3456
	;; [unrolled: 1-line block ×5, first 2 shown]
	global_load_dwordx2 v[24:25], v[4:5], off
	global_load_dwordx2 v[26:27], v[4:5], off offset:1728
	global_load_dwordx2 v[28:29], v[4:5], off offset:864
	s_movk_i32 s12, 0x4000
	v_addc_co_u32_e32 v33, vcc, 0, v5, vcc
	v_add_co_u32_e32 v34, vcc, s12, v4
	s_movk_i32 s13, 0x5000
	s_nop 0
	v_addc_co_u32_e32 v35, vcc, 0, v5, vcc
	v_add_co_u32_e32 v36, vcc, s13, v4
	global_load_dwordx2 v[38:39], v[8:9], off offset:2816
	global_load_dwordx2 v[40:41], v[8:9], off offset:3680
	;; [unrolled: 1-line block ×15, first 2 shown]
                                        ; kill: killed $vgpr8 killed $vgpr9
                                        ; kill: killed $vgpr30 killed $vgpr31
                                        ; kill: killed $vgpr32 killed $vgpr33
	global_load_dwordx2 v[8:9], v[34:35], off offset:3488
	v_addc_co_u32_e32 v37, vcc, 0, v5, vcc
	v_add_co_u32_e32 v4, vcc, 0x6000, v4
	global_load_dwordx2 v[30:31], v[36:37], off offset:256
	global_load_dwordx2 v[32:33], v[36:37], off offset:1120
	;; [unrolled: 1-line block ×4, first 2 shown]
	v_addc_co_u32_e32 v5, vcc, 0, v5, vcc
	global_load_dwordx2 v[70:71], v[36:37], off offset:3712
	global_load_dwordx2 v[72:73], v[4:5], off offset:480
	v_add_u32_e32 v0, 0, v0
	v_add_u32_e32 v4, 0x400, v0
	;; [unrolled: 1-line block ×8, first 2 shown]
	s_movk_i32 s4, 0x6b
	v_cmp_eq_u32_e32 vcc, s4, v18
	s_waitcnt vmcnt(23)
	ds_write2_b64 v4, v[26:27], v[6:7] offset0:88 offset1:196
	s_waitcnt vmcnt(22)
	ds_write2_b64 v0, v[24:25], v[28:29] offset1:108
	ds_write2_b64 v5, v[10:11], v[12:13] offset0:48 offset1:156
	ds_write2_b64 v19, v[14:15], v[22:23] offset0:136 offset1:244
	s_waitcnt vmcnt(20)
	ds_write2_b64 v36, v[38:39], v[40:41] offset0:96 offset1:204
	s_waitcnt vmcnt(18)
	;; [unrolled: 2-line block ×4, first 2 shown]
	ds_write2_b64 v75, v[50:51], v[52:53] offset0:104 offset1:212
	v_add_u32_e32 v4, 0x3400, v0
	s_waitcnt vmcnt(12)
	ds_write2_b64 v4, v[54:55], v[56:57] offset0:64 offset1:172
	v_add_u32_e32 v4, 0x3c00, v0
	s_waitcnt vmcnt(10)
	;; [unrolled: 3-line block ×5, first 2 shown]
	ds_write2_b64 v4, v[30:31], v[32:33] offset0:32 offset1:140
	v_add_u32_e32 v4, 0x5400, v0
	v_add_u32_e32 v0, 0x5c00, v0
	s_waitcnt vmcnt(2)
	ds_write2_b64 v4, v[34:35], v[68:69] offset0:120 offset1:228
	s_waitcnt vmcnt(0)
	ds_write2_b64 v0, v[70:71], v[72:73] offset0:80 offset1:188
	s_and_saveexec_b64 s[4:5], vcc
	s_cbranch_execz .LBB0_14
; %bb.13:
	v_add_co_u32_e32 v2, vcc, 0x6000, v2
	v_mov_b32_e32 v18, 0x6b
	s_nop 0
	v_addc_co_u32_e32 v3, vcc, 0, v3, vcc
	global_load_dwordx2 v[2:3], v[2:3], off offset:1344
	s_waitcnt vmcnt(0)
	ds_write_b64 v1, v[2:3] offset:25920
.LBB0_14:
	s_or_b64 exec, exec, s[4:5]
.LBB0_15:
	s_or_b64 exec, exec, s[10:11]
	v_lshlrev_b32_e32 v0, 3, v18
	v_add_u32_e32 v70, 0, v0
	s_waitcnt lgkmcnt(0)
	s_barrier
	v_sub_u32_e32 v10, 0, v0
	ds_read_b32 v0, v70
	ds_read_b32 v1, v10 offset:25920
	s_add_u32 s4, s8, 0x6528
	s_addc_u32 s5, s9, 0
	v_cmp_ne_u32_e32 vcc, 0, v18
	s_waitcnt lgkmcnt(0)
	v_add_f32_e32 v2, v1, v0
	v_sub_f32_e32 v3, v0, v1
                                        ; implicit-def: $vgpr0_vgpr1
	s_and_saveexec_b64 s[10:11], vcc
	s_xor_b64 s[10:11], exec, s[10:11]
	s_cbranch_execz .LBB0_17
; %bb.16:
	v_mov_b32_e32 v19, 0
	v_lshl_add_u64 v[0:1], v[18:19], 3, s[4:5]
	global_load_dwordx2 v[4:5], v[0:1], off
	ds_read_b32 v9, v10 offset:25924
	ds_read_b32 v11, v70 offset:4
	v_mov_b32_e32 v6, v3
	v_mov_b32_e32 v8, v2
	;; [unrolled: 1-line block ×3, first 2 shown]
	v_mov_b64_e32 v[0:1], v[18:19]
	s_waitcnt lgkmcnt(0)
	v_add_f32_e32 v7, v9, v11
	v_sub_f32_e32 v9, v11, v9
	v_mov_b32_e32 v12, v7
	s_waitcnt vmcnt(0)
	v_pk_mul_f32 v[14:15], v[6:7], v[4:5] op_sel:[0,1]
	v_pk_fma_f32 v[6:7], v[6:7], v[4:5], v[8:9] op_sel:[0,1,0]
	v_mov_b32_e32 v3, v15
	v_mov_b32_e32 v15, v9
	v_pk_fma_f32 v[22:23], v[4:5], v[12:13], v[6:7] neg_lo:[1,0,0] neg_hi:[1,0,0]
	v_pk_fma_f32 v[6:7], v[4:5], v[12:13], v[6:7] op_sel_hi:[0,1,1]
	v_pk_add_f32 v[2:3], v[2:3], v[14:15] neg_lo:[0,1] neg_hi:[0,1]
	v_mov_b32_e32 v23, v7
	v_pk_fma_f32 v[2:3], v[4:5], v[12:13], v[2:3] op_sel_hi:[0,1,1]
	ds_write_b64 v10, v[2:3] offset:25920
	v_mov_b64_e32 v[2:3], v[22:23]
.LBB0_17:
	s_andn2_saveexec_b64 s[10:11], s[10:11]
	s_cbranch_execz .LBB0_19
; %bb.18:
	v_mov_b32_e32 v4, 0
	ds_read_b64 v[0:1], v4 offset:12960
	s_mov_b32 s12, 2.0
	s_mov_b32 s13, -2.0
	s_waitcnt lgkmcnt(0)
	v_pk_mul_f32 v[0:1], v[0:1], s[12:13]
	ds_write_b64 v4, v[0:1] offset:12960
	v_mov_b64_e32 v[0:1], 0
.LBB0_19:
	s_or_b64 exec, exec, s[10:11]
	v_lshl_add_u64 v[0:1], v[0:1], 3, s[4:5]
	global_load_dwordx2 v[12:13], v[0:1], off offset:864
	v_add_u32_e32 v22, 0xd8, v18
	v_mov_b32_e32 v23, 0
	v_lshl_add_u64 v[4:5], v[22:23], 3, s[4:5]
	global_load_dwordx2 v[14:15], v[4:5], off
	v_add_u32_e32 v24, 0x144, v18
	v_mov_b32_e32 v25, v23
	v_lshl_add_u64 v[4:5], v[24:25], 3, s[4:5]
	global_load_dwordx2 v[28:29], v[4:5], off
	v_add_u32_e32 v26, 0x1b0, v18
	v_mov_b32_e32 v27, v23
	ds_write_b64 v70, v[2:3]
	v_lshl_add_u64 v[32:33], v[26:27], 3, s[4:5]
	ds_read_b64 v[2:3], v70 offset:864
	ds_read_b64 v[30:31], v10 offset:25056
	global_load_dwordx2 v[32:33], v[32:33], off
	v_add_u32_e32 v4, 0x21c, v18
	v_mov_b32_e32 v5, v23
	v_lshl_add_u32 v72, v22, 3, 0
	s_waitcnt lgkmcnt(0)
	v_pk_add_f32 v[34:35], v[2:3], v[30:31] neg_lo:[0,1] neg_hi:[0,1]
	v_pk_add_f32 v[2:3], v[2:3], v[30:31]
	v_mov_b32_e32 v30, v34
	v_mov_b32_e32 v31, v3
	;; [unrolled: 1-line block ×6, first 2 shown]
	v_add_u32_e32 v6, 0x288, v18
	v_mov_b32_e32 v7, v23
	v_lshl_add_u32 v71, v24, 3, 0
	v_add_u32_e32 v8, 0x2f4, v18
	v_mov_b32_e32 v9, v23
	v_lshl_add_u32 v19, v26, 3, 0
	s_movk_i32 s11, 0x1000
	v_lshl_add_u32 v25, v4, 3, 0
	s_movk_i32 s13, 0x2000
	v_add_u32_e32 v74, 0x2000, v70
	v_add_u32_e32 v73, 0x4000, v70
	;; [unrolled: 1-line block ×12, first 2 shown]
	s_mov_b32 s10, 0xaaab
	s_movk_i32 s12, 0x48
	s_mov_b32 s16, 0x3f167918
	s_mov_b32 s14, 0x3f4f1bbd
	;; [unrolled: 1-line block ×5, first 2 shown]
	s_waitcnt vmcnt(3)
	v_pk_mul_f32 v[40:41], v[30:31], v[12:13] op_sel:[0,1]
	v_pk_fma_f32 v[30:31], v[30:31], v[12:13], v[36:37] op_sel:[0,1,0]
	v_mov_b32_e32 v3, v41
	v_mov_b32_e32 v41, v35
	v_pk_fma_f32 v[36:37], v[12:13], v[38:39], v[30:31] neg_lo:[1,0,0] neg_hi:[1,0,0]
	v_pk_fma_f32 v[30:31], v[12:13], v[38:39], v[30:31] op_sel_hi:[0,1,1]
	v_pk_add_f32 v[2:3], v[2:3], v[40:41] neg_lo:[0,1] neg_hi:[0,1]
	v_mov_b32_e32 v37, v31
	v_pk_fma_f32 v[2:3], v[12:13], v[38:39], v[2:3] op_sel_hi:[0,1,1]
	ds_write_b64 v70, v[36:37] offset:864
	ds_write_b64 v10, v[2:3] offset:25056
	v_lshl_add_u64 v[30:31], v[4:5], 3, s[4:5]
	ds_read_b64 v[2:3], v10 offset:24192
	ds_read_b64 v[12:13], v72
	global_load_dwordx2 v[30:31], v[30:31], off
	v_add_u32_e32 v5, 0x400, v70
	s_waitcnt lgkmcnt(0)
	v_pk_add_f32 v[34:35], v[12:13], v[2:3] neg_lo:[0,1] neg_hi:[0,1]
	v_pk_add_f32 v[2:3], v[12:13], v[2:3]
	v_mov_b32_e32 v12, v34
	v_mov_b32_e32 v13, v3
	;; [unrolled: 1-line block ×4, first 2 shown]
	s_waitcnt vmcnt(3)
	v_pk_mul_f32 v[40:41], v[12:13], v[14:15] op_sel:[0,1]
	v_mov_b32_e32 v38, v3
	v_mov_b32_e32 v39, v34
	v_pk_fma_f32 v[12:13], v[12:13], v[14:15], v[36:37] op_sel:[0,1,0]
	v_mov_b32_e32 v3, v41
	v_mov_b32_e32 v41, v35
	v_pk_fma_f32 v[36:37], v[14:15], v[38:39], v[12:13] neg_lo:[1,0,0] neg_hi:[1,0,0]
	v_pk_fma_f32 v[12:13], v[14:15], v[38:39], v[12:13] op_sel_hi:[0,1,1]
	v_pk_add_f32 v[2:3], v[2:3], v[40:41] neg_lo:[0,1] neg_hi:[0,1]
	v_mov_b32_e32 v37, v13
	v_pk_fma_f32 v[2:3], v[14:15], v[38:39], v[2:3] op_sel_hi:[0,1,1]
	ds_write_b64 v72, v[36:37]
	ds_write_b64 v10, v[2:3] offset:24192
	v_lshl_add_u64 v[14:15], v[6:7], 3, s[4:5]
	ds_read_b64 v[2:3], v10 offset:23328
	ds_read_b64 v[12:13], v71
	global_load_dwordx2 v[14:15], v[14:15], off
	v_add_u32_e32 v7, 0x3cc, v18
	s_waitcnt lgkmcnt(0)
	v_pk_add_f32 v[34:35], v[12:13], v[2:3] neg_lo:[0,1] neg_hi:[0,1]
	v_pk_add_f32 v[2:3], v[12:13], v[2:3]
	v_mov_b32_e32 v12, v34
	v_mov_b32_e32 v13, v3
	;; [unrolled: 1-line block ×4, first 2 shown]
	s_waitcnt vmcnt(3)
	v_pk_mul_f32 v[40:41], v[12:13], v[28:29] op_sel:[0,1]
	v_mov_b32_e32 v38, v3
	v_mov_b32_e32 v39, v34
	v_pk_fma_f32 v[12:13], v[12:13], v[28:29], v[36:37] op_sel:[0,1,0]
	v_mov_b32_e32 v3, v41
	v_mov_b32_e32 v41, v35
	v_pk_fma_f32 v[36:37], v[28:29], v[38:39], v[12:13] neg_lo:[1,0,0] neg_hi:[1,0,0]
	v_pk_fma_f32 v[12:13], v[28:29], v[38:39], v[12:13] op_sel_hi:[0,1,1]
	v_pk_add_f32 v[2:3], v[2:3], v[40:41] neg_lo:[0,1] neg_hi:[0,1]
	v_mov_b32_e32 v37, v13
	v_pk_fma_f32 v[2:3], v[28:29], v[38:39], v[2:3] op_sel_hi:[0,1,1]
	ds_write_b64 v71, v[36:37]
	ds_write_b64 v10, v[2:3] offset:23328
	v_lshl_add_u64 v[28:29], v[8:9], 3, s[4:5]
	ds_read_b64 v[2:3], v10 offset:22464
	ds_read_b64 v[12:13], v19
	global_load_dwordx2 v[28:29], v[28:29], off
	s_mov_b32 s4, 0x3f5db3d7
	s_mov_b32 s5, 0xbf5db3d7
	v_mad_u32_u24 v9, v8, 24, 0
	s_waitcnt lgkmcnt(0)
	v_pk_add_f32 v[34:35], v[12:13], v[2:3] neg_lo:[0,1] neg_hi:[0,1]
	v_pk_add_f32 v[2:3], v[12:13], v[2:3]
	v_mov_b32_e32 v12, v34
	v_mov_b32_e32 v13, v3
	;; [unrolled: 1-line block ×4, first 2 shown]
	s_waitcnt vmcnt(3)
	v_pk_mul_f32 v[40:41], v[12:13], v[32:33] op_sel:[0,1]
	v_mov_b32_e32 v38, v3
	v_mov_b32_e32 v39, v34
	v_pk_fma_f32 v[12:13], v[12:13], v[32:33], v[36:37] op_sel:[0,1,0]
	v_mov_b32_e32 v3, v41
	v_mov_b32_e32 v41, v35
	v_pk_fma_f32 v[36:37], v[32:33], v[38:39], v[12:13] neg_lo:[1,0,0] neg_hi:[1,0,0]
	v_pk_fma_f32 v[12:13], v[32:33], v[38:39], v[12:13] op_sel_hi:[0,1,1]
	v_pk_add_f32 v[2:3], v[2:3], v[40:41] neg_lo:[0,1] neg_hi:[0,1]
	v_mov_b32_e32 v37, v13
	v_pk_fma_f32 v[2:3], v[32:33], v[38:39], v[2:3] op_sel_hi:[0,1,1]
	v_add_co_u32_e32 v32, vcc, s11, v0
	ds_write_b64 v19, v[36:37]
	ds_write_b64 v10, v[2:3] offset:22464
	v_addc_co_u32_e32 v33, vcc, 0, v1, vcc
	ds_read_b64 v[2:3], v10 offset:21600
	ds_read_b64 v[12:13], v25
	global_load_dwordx2 v[34:35], v[32:33], off offset:2816
	v_add_co_u32_e32 v0, vcc, s13, v0
	s_waitcnt lgkmcnt(0)
	v_pk_add_f32 v[36:37], v[12:13], v[2:3] neg_lo:[0,1] neg_hi:[0,1]
	v_pk_add_f32 v[2:3], v[12:13], v[2:3]
	v_mov_b32_e32 v12, v36
	v_mov_b32_e32 v13, v3
	;; [unrolled: 1-line block ×4, first 2 shown]
	s_waitcnt vmcnt(3)
	v_pk_mul_f32 v[40:41], v[12:13], v[30:31] op_sel:[0,1]
	v_pk_fma_f32 v[12:13], v[12:13], v[30:31], v[38:39] op_sel:[0,1,0]
	v_mov_b32_e32 v38, v3
	v_mov_b32_e32 v39, v36
	v_mov_b32_e32 v3, v41
	v_mov_b32_e32 v41, v37
	v_pk_fma_f32 v[42:43], v[30:31], v[38:39], v[12:13] neg_lo:[1,0,0] neg_hi:[1,0,0]
	v_pk_fma_f32 v[12:13], v[30:31], v[38:39], v[12:13] op_sel_hi:[0,1,1]
	v_pk_add_f32 v[2:3], v[2:3], v[40:41] neg_lo:[0,1] neg_hi:[0,1]
	v_mov_b32_e32 v43, v13
	v_pk_fma_f32 v[2:3], v[30:31], v[38:39], v[2:3] op_sel_hi:[0,1,1]
	ds_write_b64 v25, v[42:43]
	ds_write_b64 v10, v[2:3] offset:21600
	v_lshl_add_u32 v40, v6, 3, 0
	ds_read_b64 v[2:3], v10 offset:20736
	ds_read_b64 v[12:13], v40
	global_load_dwordx2 v[32:33], v[32:33], off offset:3680
	v_addc_co_u32_e32 v1, vcc, 0, v1, vcc
	s_waitcnt lgkmcnt(0)
	v_pk_add_f32 v[30:31], v[12:13], v[2:3] neg_lo:[0,1] neg_hi:[0,1]
	v_pk_add_f32 v[2:3], v[12:13], v[2:3]
	v_mov_b32_e32 v12, v30
	v_mov_b32_e32 v13, v3
	;; [unrolled: 1-line block ×4, first 2 shown]
	s_waitcnt vmcnt(3)
	v_pk_mul_f32 v[38:39], v[12:13], v[14:15] op_sel:[0,1]
	v_pk_fma_f32 v[12:13], v[12:13], v[14:15], v[36:37] op_sel:[0,1,0]
	v_mov_b32_e32 v36, v3
	v_mov_b32_e32 v37, v30
	v_mov_b32_e32 v3, v39
	v_mov_b32_e32 v39, v31
	v_pk_fma_f32 v[42:43], v[14:15], v[36:37], v[12:13] neg_lo:[1,0,0] neg_hi:[1,0,0]
	v_pk_fma_f32 v[12:13], v[14:15], v[36:37], v[12:13] op_sel_hi:[0,1,1]
	v_pk_add_f32 v[2:3], v[2:3], v[38:39] neg_lo:[0,1] neg_hi:[0,1]
	v_mov_b32_e32 v43, v13
	v_pk_fma_f32 v[2:3], v[14:15], v[36:37], v[2:3] op_sel_hi:[0,1,1]
	ds_write_b64 v40, v[42:43]
	ds_write_b64 v10, v[2:3] offset:20736
	v_lshl_add_u32 v37, v8, 3, 0
	ds_read_b64 v[2:3], v10 offset:19872
	ds_read_b64 v[12:13], v37
	global_load_dwordx2 v[38:39], v[0:1], off offset:448
	v_add_u32_e32 v36, 0xc00, v70
	s_waitcnt lgkmcnt(0)
	v_pk_add_f32 v[14:15], v[12:13], v[2:3] neg_lo:[0,1] neg_hi:[0,1]
	v_pk_add_f32 v[2:3], v[12:13], v[2:3]
	v_mov_b32_e32 v12, v14
	v_mov_b32_e32 v13, v3
	;; [unrolled: 1-line block ×4, first 2 shown]
	s_waitcnt vmcnt(3)
	v_pk_mul_f32 v[42:43], v[12:13], v[28:29] op_sel:[0,1]
	v_pk_fma_f32 v[12:13], v[12:13], v[28:29], v[30:31] op_sel:[0,1,0]
	v_mov_b32_e32 v30, v3
	v_mov_b32_e32 v31, v14
	;; [unrolled: 1-line block ×4, first 2 shown]
	v_pk_fma_f32 v[44:45], v[28:29], v[30:31], v[12:13] neg_lo:[1,0,0] neg_hi:[1,0,0]
	v_pk_fma_f32 v[12:13], v[28:29], v[30:31], v[12:13] op_sel_hi:[0,1,1]
	v_pk_add_f32 v[2:3], v[2:3], v[42:43] neg_lo:[0,1] neg_hi:[0,1]
	v_mov_b32_e32 v45, v13
	v_pk_fma_f32 v[2:3], v[28:29], v[30:31], v[2:3] op_sel_hi:[0,1,1]
	ds_write_b64 v37, v[44:45]
	ds_write_b64 v10, v[2:3] offset:19872
	ds_read_b64 v[2:3], v10 offset:19008
	ds_read_b64 v[12:13], v70 offset:6912
	global_load_dwordx2 v[30:31], v[0:1], off offset:1312
	s_waitcnt lgkmcnt(0)
	v_pk_add_f32 v[14:15], v[12:13], v[2:3] neg_lo:[0,1] neg_hi:[0,1]
	v_pk_add_f32 v[2:3], v[12:13], v[2:3]
	v_mov_b32_e32 v12, v14
	v_mov_b32_e32 v13, v3
	v_mov_b32_e32 v28, v2
	v_mov_b32_e32 v29, v15
	s_waitcnt vmcnt(3)
	v_pk_mul_f32 v[42:43], v[12:13], v[34:35] op_sel:[0,1]
	v_pk_fma_f32 v[12:13], v[12:13], v[34:35], v[28:29] op_sel:[0,1,0]
	v_mov_b32_e32 v28, v3
	v_mov_b32_e32 v29, v14
	v_mov_b32_e32 v3, v43
	v_mov_b32_e32 v43, v15
	v_pk_fma_f32 v[44:45], v[34:35], v[28:29], v[12:13] neg_lo:[1,0,0] neg_hi:[1,0,0]
	v_pk_fma_f32 v[12:13], v[34:35], v[28:29], v[12:13] op_sel_hi:[0,1,1]
	v_pk_add_f32 v[2:3], v[2:3], v[42:43] neg_lo:[0,1] neg_hi:[0,1]
	v_mov_b32_e32 v45, v13
	v_pk_fma_f32 v[2:3], v[34:35], v[28:29], v[2:3] op_sel_hi:[0,1,1]
	ds_write_b64 v70, v[44:45] offset:6912
	ds_write_b64 v10, v[2:3] offset:19008
	ds_read_b64 v[2:3], v10 offset:18144
	ds_read_b64 v[12:13], v70 offset:7776
	global_load_dwordx2 v[28:29], v[0:1], off offset:2176
	s_waitcnt lgkmcnt(0)
	v_pk_add_f32 v[14:15], v[12:13], v[2:3] neg_lo:[0,1] neg_hi:[0,1]
	v_pk_add_f32 v[2:3], v[12:13], v[2:3]
	v_mov_b32_e32 v12, v14
	v_mov_b32_e32 v13, v3
	v_mov_b32_e32 v34, v2
	v_mov_b32_e32 v35, v15
	s_waitcnt vmcnt(3)
	v_pk_mul_f32 v[42:43], v[12:13], v[32:33] op_sel:[0,1]
	v_pk_fma_f32 v[12:13], v[12:13], v[32:33], v[34:35] op_sel:[0,1,0]
	v_mov_b32_e32 v34, v3
	v_mov_b32_e32 v35, v14
	v_mov_b32_e32 v3, v43
	v_mov_b32_e32 v43, v15
	v_pk_fma_f32 v[44:45], v[32:33], v[34:35], v[12:13] neg_lo:[1,0,0] neg_hi:[1,0,0]
	v_pk_fma_f32 v[12:13], v[32:33], v[34:35], v[12:13] op_sel_hi:[0,1,1]
	v_pk_add_f32 v[2:3], v[2:3], v[42:43] neg_lo:[0,1] neg_hi:[0,1]
	v_mov_b32_e32 v45, v13
	v_pk_fma_f32 v[2:3], v[32:33], v[34:35], v[2:3] op_sel_hi:[0,1,1]
	ds_write_b64 v70, v[44:45] offset:7776
	;; [unrolled: 24-line block ×4, first 2 shown]
	ds_write_b64 v10, v[2:3] offset:16416
	ds_read_b64 v[2:3], v10 offset:15552
	ds_read_b64 v[12:13], v70 offset:10368
	s_waitcnt lgkmcnt(0)
	v_pk_add_f32 v[14:15], v[12:13], v[2:3] neg_lo:[0,1] neg_hi:[0,1]
	v_pk_add_f32 v[2:3], v[12:13], v[2:3]
	v_mov_b32_e32 v12, v14
	v_mov_b32_e32 v13, v3
	v_mov_b32_e32 v30, v2
	v_mov_b32_e32 v31, v15
	s_waitcnt vmcnt(2)
	v_pk_mul_f32 v[34:35], v[12:13], v[28:29] op_sel:[0,1]
	v_pk_fma_f32 v[12:13], v[12:13], v[28:29], v[30:31] op_sel:[0,1,0]
	v_mov_b32_e32 v30, v3
	v_mov_b32_e32 v31, v14
	v_mov_b32_e32 v3, v35
	v_mov_b32_e32 v35, v15
	v_pk_fma_f32 v[38:39], v[28:29], v[30:31], v[12:13] neg_lo:[1,0,0] neg_hi:[1,0,0]
	v_pk_fma_f32 v[12:13], v[28:29], v[30:31], v[12:13] op_sel_hi:[0,1,1]
	v_pk_add_f32 v[2:3], v[2:3], v[34:35] neg_lo:[0,1] neg_hi:[0,1]
	v_mov_b32_e32 v39, v13
	v_pk_fma_f32 v[2:3], v[28:29], v[30:31], v[2:3] op_sel_hi:[0,1,1]
	ds_write_b64 v70, v[38:39] offset:10368
	ds_write_b64 v10, v[2:3] offset:15552
	ds_read_b64 v[2:3], v10 offset:14688
	ds_read_b64 v[12:13], v70 offset:11232
	s_waitcnt lgkmcnt(0)
	v_pk_add_f32 v[14:15], v[12:13], v[2:3] neg_lo:[0,1] neg_hi:[0,1]
	v_pk_add_f32 v[2:3], v[12:13], v[2:3]
	v_mov_b32_e32 v12, v14
	v_mov_b32_e32 v13, v3
	v_mov_b32_e32 v28, v2
	v_mov_b32_e32 v29, v15
	s_waitcnt vmcnt(1)
	v_pk_mul_f32 v[30:31], v[12:13], v[32:33] op_sel:[0,1]
	v_pk_fma_f32 v[12:13], v[12:13], v[32:33], v[28:29] op_sel:[0,1,0]
	v_mov_b32_e32 v28, v3
	v_mov_b32_e32 v29, v14
	v_mov_b32_e32 v3, v31
	v_mov_b32_e32 v31, v15
	v_pk_fma_f32 v[34:35], v[32:33], v[28:29], v[12:13] neg_lo:[1,0,0] neg_hi:[1,0,0]
	v_pk_fma_f32 v[12:13], v[32:33], v[28:29], v[12:13] op_sel_hi:[0,1,1]
	v_pk_add_f32 v[2:3], v[2:3], v[30:31] neg_lo:[0,1] neg_hi:[0,1]
	v_mov_b32_e32 v35, v13
	v_pk_fma_f32 v[2:3], v[32:33], v[28:29], v[2:3] op_sel_hi:[0,1,1]
	ds_write_b64 v70, v[34:35] offset:11232
	;; [unrolled: 23-line block ×3, first 2 shown]
	ds_write_b64 v10, v[0:1] offset:13824
	s_waitcnt lgkmcnt(0)
	s_barrier
	s_barrier
	ds_read2_b64 v[0:3], v70 offset1:108
	ds_read2_b64 v[10:13], v74 offset0:56 offset1:164
	ds_read2_b64 v[28:31], v73 offset0:112 offset1:220
	s_waitcnt lgkmcnt(1)
	v_pk_add_f32 v[14:15], v[2:3], v[12:13]
	s_waitcnt lgkmcnt(0)
	v_pk_add_f32 v[34:35], v[14:15], v[30:31]
	v_pk_add_f32 v[14:15], v[12:13], v[30:31]
	v_pk_add_f32 v[12:13], v[12:13], v[30:31] neg_lo:[0,1] neg_hi:[0,1]
	v_pk_fma_f32 v[2:3], v[14:15], 0.5, v[2:3] op_sel_hi:[1,0,1] neg_lo:[1,0,0] neg_hi:[1,0,0]
	v_pk_mul_f32 v[12:13], v[12:13], s[4:5] op_sel_hi:[1,0]
	ds_read2_b64 v[30:33], v77 offset0:16 offset1:124
	v_pk_add_f32 v[38:39], v[2:3], v[12:13] op_sel:[0,1] op_sel_hi:[1,0]
	v_pk_add_f32 v[2:3], v[2:3], v[12:13] op_sel:[0,1] op_sel_hi:[1,0] neg_lo:[0,1] neg_hi:[0,1]
	ds_read2_b64 v[12:15], v5 offset0:88 offset1:196
	v_lshl_add_u32 v5, v18, 4, v70
	v_mov_b32_e32 v96, v38
	v_mov_b32_e32 v97, v3
	v_add_u32_e32 v3, 0xa20, v5
	ds_read2_b64 v[42:45], v27 offset0:72 offset1:180
	ds_read2_b64 v[46:49], v36 offset0:48 offset1:156
	;; [unrolled: 1-line block ×10, first 2 shown]
	s_waitcnt lgkmcnt(0)
	s_barrier
	ds_write2_b64 v3, v[34:35], v[96:97] offset1:1
	v_pk_add_f32 v[34:35], v[0:1], v[10:11]
	v_pk_add_f32 v[96:97], v[10:11], v[28:29]
	v_pk_add_f32 v[10:11], v[10:11], v[28:29] neg_lo:[0,1] neg_hi:[0,1]
	v_pk_add_f32 v[28:29], v[34:35], v[28:29]
	v_pk_add_f32 v[34:35], v[12:13], v[30:31]
	;; [unrolled: 1-line block ×3, first 2 shown]
	v_pk_fma_f32 v[0:1], v[96:97], 0.5, v[0:1] op_sel_hi:[1,0,1] neg_lo:[1,0,0] neg_hi:[1,0,0]
	v_pk_add_f32 v[96:97], v[30:31], v[42:43]
	v_pk_add_f32 v[30:31], v[30:31], v[42:43] neg_lo:[0,1] neg_hi:[0,1]
	v_pk_add_f32 v[100:101], v[32:33], v[44:45]
	v_pk_add_f32 v[32:33], v[32:33], v[44:45] neg_lo:[0,1] neg_hi:[0,1]
	v_pk_add_f32 v[34:35], v[34:35], v[42:43]
	v_pk_add_f32 v[42:43], v[98:99], v[44:45]
	;; [unrolled: 1-line block ×4, first 2 shown]
	v_pk_fma_f32 v[12:13], v[96:97], 0.5, v[12:13] op_sel_hi:[1,0,1] neg_lo:[1,0,0] neg_hi:[1,0,0]
	v_pk_fma_f32 v[14:15], v[100:101], 0.5, v[14:15] op_sel_hi:[1,0,1] neg_lo:[1,0,0] neg_hi:[1,0,0]
	v_pk_add_f32 v[96:97], v[50:51], v[54:55]
	v_pk_add_f32 v[50:51], v[50:51], v[54:55] neg_lo:[0,1] neg_hi:[0,1]
	v_pk_add_f32 v[100:101], v[52:53], v[56:57]
	v_pk_add_f32 v[52:53], v[52:53], v[56:57] neg_lo:[0,1] neg_hi:[0,1]
	v_pk_add_f32 v[44:45], v[44:45], v[54:55]
	v_pk_add_f32 v[54:55], v[98:99], v[56:57]
	;; [unrolled: 1-line block ×4, first 2 shown]
	v_pk_mul_f32 v[10:11], v[10:11], s[4:5] op_sel_hi:[1,0]
	v_pk_fma_f32 v[46:47], v[96:97], 0.5, v[46:47] op_sel_hi:[1,0,1] neg_lo:[1,0,0] neg_hi:[1,0,0]
	v_pk_fma_f32 v[48:49], v[100:101], 0.5, v[48:49] op_sel_hi:[1,0,1] neg_lo:[1,0,0] neg_hi:[1,0,0]
	v_pk_add_f32 v[96:97], v[62:63], v[66:67]
	v_pk_add_f32 v[62:63], v[62:63], v[66:67] neg_lo:[0,1] neg_hi:[0,1]
	v_pk_add_f32 v[100:101], v[64:65], v[68:69]
	v_pk_add_f32 v[64:65], v[64:65], v[68:69] neg_lo:[0,1] neg_hi:[0,1]
	v_pk_add_f32 v[56:57], v[56:57], v[66:67]
	v_pk_add_f32 v[66:67], v[98:99], v[68:69]
	v_pk_add_f32 v[68:69], v[0:1], v[10:11] op_sel:[0,1] op_sel_hi:[1,0]
	v_pk_add_f32 v[0:1], v[0:1], v[10:11] op_sel:[0,1] op_sel_hi:[1,0] neg_lo:[0,1] neg_hi:[0,1]
	v_mov_b32_e32 v10, v68
	v_mov_b32_e32 v11, v1
	ds_write2_b64 v5, v[28:29], v[10:11] offset1:1
	v_pk_mul_f32 v[10:11], v[30:31], s[4:5] op_sel_hi:[1,0]
	v_mov_b32_e32 v1, v69
	v_pk_add_f32 v[28:29], v[12:13], v[10:11] op_sel:[0,1] op_sel_hi:[1,0]
	v_pk_add_f32 v[10:11], v[12:13], v[10:11] op_sel:[0,1] op_sel_hi:[1,0] neg_lo:[0,1] neg_hi:[0,1]
	v_mov_b32_e32 v3, v39
	ds_write_b64 v5, v[0:1] offset:16
	ds_write_b64 v5, v[2:3] offset:2608
	v_mov_b32_e32 v0, v28
	v_mov_b32_e32 v1, v11
	v_mad_u32_u24 v2, v22, 24, 0
	ds_write2_b64 v2, v[34:35], v[0:1] offset1:1
	v_mov_b32_e32 v11, v29
	v_pk_mul_f32 v[0:1], v[32:33], s[4:5] op_sel_hi:[1,0]
	ds_write_b64 v2, v[10:11] offset:16
	v_pk_add_f32 v[2:3], v[14:15], v[0:1] op_sel:[0,1] op_sel_hi:[1,0]
	v_pk_add_f32 v[0:1], v[14:15], v[0:1] op_sel:[0,1] op_sel_hi:[1,0] neg_lo:[0,1] neg_hi:[0,1]
	v_mov_b32_e32 v10, v2
	v_mov_b32_e32 v11, v1
	v_mad_u32_u24 v2, v24, 24, 0
	v_mov_b32_e32 v1, v3
	ds_write_b64 v2, v[0:1] offset:16
	v_pk_mul_f32 v[0:1], v[50:51], s[4:5] op_sel_hi:[1,0]
	ds_write2_b64 v2, v[42:43], v[10:11] offset1:1
	v_pk_add_f32 v[2:3], v[46:47], v[0:1] op_sel:[0,1] op_sel_hi:[1,0]
	v_pk_add_f32 v[0:1], v[46:47], v[0:1] op_sel:[0,1] op_sel_hi:[1,0] neg_lo:[0,1] neg_hi:[0,1]
	v_mov_b32_e32 v10, v2
	v_mov_b32_e32 v11, v1
	v_mad_u32_u24 v2, v26, 24, 0
	v_mov_b32_e32 v1, v3
	ds_write_b64 v2, v[0:1] offset:16
	v_pk_mul_f32 v[0:1], v[52:53], s[4:5] op_sel_hi:[1,0]
	ds_write2_b64 v2, v[44:45], v[10:11] offset1:1
	v_pk_add_f32 v[2:3], v[48:49], v[0:1] op_sel:[0,1] op_sel_hi:[1,0]
	v_pk_add_f32 v[0:1], v[48:49], v[0:1] op_sel:[0,1] op_sel_hi:[1,0] neg_lo:[0,1] neg_hi:[0,1]
	v_mov_b32_e32 v10, v2
	v_mov_b32_e32 v11, v1
	v_mad_u32_u24 v2, v4, 24, 0
	v_mov_b32_e32 v1, v3
	v_pk_fma_f32 v[58:59], v[96:97], 0.5, v[58:59] op_sel_hi:[1,0,1] neg_lo:[1,0,0] neg_hi:[1,0,0]
	ds_write_b64 v2, v[0:1] offset:16
	v_pk_mul_f32 v[0:1], v[62:63], s[4:5] op_sel_hi:[1,0]
	ds_write2_b64 v2, v[54:55], v[10:11] offset1:1
	v_pk_add_f32 v[2:3], v[58:59], v[0:1] op_sel:[0,1] op_sel_hi:[1,0]
	v_pk_add_f32 v[0:1], v[58:59], v[0:1] op_sel:[0,1] op_sel_hi:[1,0] neg_lo:[0,1] neg_hi:[0,1]
	v_mov_b32_e32 v10, v2
	v_mov_b32_e32 v11, v1
	v_mad_u32_u24 v2, v6, 24, 0
	v_pk_fma_f32 v[60:61], v[100:101], 0.5, v[60:61] op_sel_hi:[1,0,1] neg_lo:[1,0,0] neg_hi:[1,0,0]
	ds_write2_b64 v2, v[56:57], v[10:11] offset1:1
	v_pk_mul_f32 v[10:11], v[64:65], s[4:5] op_sel_hi:[1,0]
	v_mov_b32_e32 v1, v3
	v_pk_add_f32 v[12:13], v[60:61], v[10:11] op_sel:[0,1] op_sel_hi:[1,0]
	v_pk_add_f32 v[10:11], v[60:61], v[10:11] op_sel:[0,1] op_sel_hi:[1,0] neg_lo:[0,1] neg_hi:[0,1]
	ds_write_b64 v2, v[0:1] offset:16
	v_mov_b32_e32 v2, v12
	v_mov_b32_e32 v3, v11
	v_pk_add_f32 v[0:1], v[88:89], v[92:93]
	ds_write2_b64 v9, v[66:67], v[2:3] offset1:1
	v_pk_add_f32 v[2:3], v[88:89], v[92:93] neg_lo:[0,1] neg_hi:[0,1]
	v_pk_fma_f32 v[0:1], v[0:1], 0.5, v[84:85] op_sel_hi:[1,0,1] neg_lo:[1,0,0] neg_hi:[1,0,0]
	v_pk_mul_f32 v[2:3], v[2:3], s[4:5] op_sel_hi:[1,0]
	v_add_u32_e32 v28, 0x5100, v5
	v_pk_add_f32 v[14:15], v[0:1], v[2:3] op_sel:[0,1] op_sel_hi:[1,0]
	v_pk_add_f32 v[0:1], v[0:1], v[2:3] op_sel:[0,1] op_sel_hi:[1,0] neg_lo:[0,1] neg_hi:[0,1]
	v_pk_add_f32 v[2:3], v[84:85], v[88:89]
	v_mov_b32_e32 v11, v13
	v_pk_add_f32 v[2:3], v[2:3], v[92:93]
	v_mov_b32_e32 v12, v14
	v_mov_b32_e32 v13, v1
	v_mov_b32_e32 v1, v15
	ds_write_b64 v9, v[10:11] offset:16
	ds_write2_b64 v28, v[2:3], v[12:13] offset1:1
	ds_write_b64 v5, v[0:1] offset:20752
	v_pk_add_f32 v[0:1], v[90:91], v[94:95]
	v_pk_add_f32 v[2:3], v[90:91], v[94:95] neg_lo:[0,1] neg_hi:[0,1]
	v_pk_fma_f32 v[0:1], v[0:1], 0.5, v[86:87] op_sel_hi:[1,0,1] neg_lo:[1,0,0] neg_hi:[1,0,0]
	v_pk_mul_f32 v[2:3], v[2:3], s[4:5] op_sel_hi:[1,0]
	v_add_u32_e32 v29, 0x5b20, v5
	v_pk_add_f32 v[12:13], v[0:1], v[2:3] op_sel:[0,1] op_sel_hi:[1,0]
	v_pk_add_f32 v[0:1], v[0:1], v[2:3] op_sel:[0,1] op_sel_hi:[1,0] neg_lo:[0,1] neg_hi:[0,1]
	v_pk_add_f32 v[10:11], v[86:87], v[90:91]
	v_mov_b32_e32 v3, v1
	v_mov_b32_e32 v1, v13
	ds_write_b64 v5, v[0:1] offset:23344
	v_mul_u32_u24_sdwa v0, v7, s10 dst_sel:DWORD dst_unused:UNUSED_PAD src0_sel:WORD_0 src1_sel:DWORD
	v_lshrrev_b32_e32 v38, 17, v0
	v_mul_lo_u16_e32 v0, 3, v38
	v_add_u32_e32 v5, 0x360, v18
	v_sub_u16_e32 v39, v7, v0
	v_mul_u32_u24_sdwa v7, v5, s10 dst_sel:DWORD dst_unused:UNUSED_PAD src0_sel:WORD_0 src1_sel:DWORD
	v_lshrrev_b32_e32 v41, 17, v7
	v_mul_lo_u16_e32 v7, 3, v41
	v_sub_u16_e32 v132, v5, v7
	v_pk_add_f32 v[10:11], v[10:11], v[94:95]
	v_mov_b32_e32 v2, v12
	v_lshlrev_b32_e32 v5, 4, v132
	ds_write2_b64 v29, v[10:11], v[2:3] offset1:1
	s_waitcnt lgkmcnt(0)
	s_barrier
	v_lshlrev_b32_e32 v0, 4, v39
	global_load_dwordx4 v[28:31], v5, s[8:9]
	v_mul_u32_u24_sdwa v5, v8, s10 dst_sel:DWORD dst_unused:UNUSED_PAD src0_sel:WORD_0 src1_sel:DWORD
	global_load_dwordx4 v[0:3], v0, s[8:9]
	v_lshrrev_b32_e32 v133, 17, v5
	v_mul_lo_u16_e32 v5, 3, v133
	v_sub_u16_e32 v134, v8, v5
	v_lshlrev_b32_e32 v5, 4, v134
	global_load_dwordx4 v[42:45], v5, s[8:9]
	v_mul_u32_u24_sdwa v5, v6, s10 dst_sel:DWORD dst_unused:UNUSED_PAD src0_sel:WORD_0 src1_sel:DWORD
	v_lshrrev_b32_e32 v135, 17, v5
	v_mul_lo_u16_e32 v5, 3, v135
	v_sub_u16_e32 v136, v6, v5
	v_lshlrev_b32_e32 v5, 4, v136
	global_load_dwordx4 v[46:49], v5, s[8:9]
	v_mul_u32_u24_sdwa v5, v4, s10 dst_sel:DWORD dst_unused:UNUSED_PAD src0_sel:WORD_0 src1_sel:DWORD
	;; [unrolled: 6-line block ×5, first 2 shown]
	v_lshrrev_b32_e32 v143, 17, v4
	v_mul_lo_u16_e32 v4, 3, v143
	v_sub_u16_e32 v144, v22, v4
	v_lshlrev_b32_e32 v4, 4, v144
	global_load_dwordx4 v[62:65], v4, s[8:9]
	ds_read2_b64 v[6:9], v82 offset0:24 offset1:132
	ds_read2_b64 v[66:69], v80 offset0:80 offset1:188
	;; [unrolled: 1-line block ×3, first 2 shown]
	s_movk_i32 s10, 0xab
	s_waitcnt vmcnt(6) lgkmcnt(2)
	v_pk_mul_f32 v[10:11], v[8:9], v[0:1] op_sel:[0,1]
	s_nop 0
	v_pk_fma_f32 v[4:5], v[8:9], v[0:1], v[10:11] op_sel:[0,0,1] op_sel_hi:[1,1,0] neg_lo:[0,0,1] neg_hi:[0,0,1]
	v_pk_fma_f32 v[12:13], v[8:9], v[0:1], v[10:11] op_sel:[0,0,1] op_sel_hi:[1,0,0]
	v_mov_b32_e32 v0, v3
	s_waitcnt lgkmcnt(1)
	v_pk_mul_f32 v[8:9], v[68:69], v[0:1] op_sel_hi:[1,0]
	s_waitcnt vmcnt(5) lgkmcnt(0)
	v_pk_mul_f32 v[10:11], v[86:87], v[42:43] op_sel:[0,1]
	v_pk_fma_f32 v[0:1], v[68:69], v[2:3], v[8:9] op_sel:[0,0,1] op_sel_hi:[1,1,0] neg_lo:[0,0,1] neg_hi:[0,0,1]
	v_pk_fma_f32 v[14:15], v[68:69], v[2:3], v[8:9] op_sel:[0,0,1] op_sel_hi:[1,0,0]
	v_pk_mul_f32 v[8:9], v[6:7], v[28:29] op_sel:[0,1]
	v_mov_b32_e32 v5, 4
	v_pk_fma_f32 v[2:3], v[6:7], v[28:29], v[8:9] op_sel:[0,0,1] op_sel_hi:[1,1,0] neg_lo:[0,0,1] neg_hi:[0,0,1]
	v_pk_fma_f32 v[32:33], v[6:7], v[28:29], v[8:9] op_sel:[0,0,1] op_sel_hi:[1,0,0]
	v_mov_b32_e32 v6, v31
	v_pk_mul_f32 v[8:9], v[66:67], v[6:7] op_sel_hi:[1,0]
	v_pk_fma_f32 v[28:29], v[86:87], v[42:43], v[10:11] op_sel:[0,0,1] op_sel_hi:[1,0,0]
	v_pk_fma_f32 v[6:7], v[66:67], v[30:31], v[8:9] op_sel:[0,0,1] op_sel_hi:[1,1,0] neg_lo:[0,0,1] neg_hi:[0,0,1]
	v_pk_fma_f32 v[34:35], v[66:67], v[30:31], v[8:9] op_sel:[0,0,1] op_sel_hi:[1,0,0]
	ds_read2_b64 v[66:69], v78 offset0:120 offset1:228
	v_pk_fma_f32 v[8:9], v[86:87], v[42:43], v[10:11] op_sel:[0,0,1] op_sel_hi:[1,1,0] neg_lo:[0,0,1] neg_hi:[0,0,1]
	v_mov_b32_e32 v10, v45
	s_waitcnt vmcnt(4)
	v_pk_mul_f32 v[42:43], v[84:85], v[46:47] op_sel:[0,1]
	v_mov_b32_e32 v12, v49
	s_waitcnt lgkmcnt(0)
	v_pk_mul_f32 v[30:31], v[68:69], v[10:11] op_sel_hi:[1,0]
	v_pk_fma_f32 v[86:87], v[84:85], v[46:47], v[42:43] op_sel:[0,0,1] op_sel_hi:[1,0,0]
	v_pk_fma_f32 v[10:11], v[68:69], v[44:45], v[30:31] op_sel:[0,0,1] op_sel_hi:[1,1,0] neg_lo:[0,0,1] neg_hi:[0,0,1]
	v_pk_fma_f32 v[30:31], v[68:69], v[44:45], v[30:31] op_sel:[0,0,1] op_sel_hi:[1,0,0]
	v_pk_fma_f32 v[68:69], v[84:85], v[46:47], v[42:43] op_sel:[0,0,1] op_sel_hi:[1,1,0] neg_lo:[0,0,1] neg_hi:[0,0,1]
	ds_read2_b64 v[42:45], v79 offset0:104 offset1:212
	v_pk_mul_f32 v[46:47], v[66:67], v[12:13] op_sel_hi:[1,0]
	s_waitcnt vmcnt(3)
	v_mov_b32_e32 v12, v53
	v_pk_fma_f32 v[88:89], v[66:67], v[48:49], v[46:47] op_sel:[0,0,1] op_sel_hi:[1,1,0] neg_lo:[0,0,1] neg_hi:[0,0,1]
	v_pk_fma_f32 v[66:67], v[66:67], v[48:49], v[46:47] op_sel:[0,0,1] op_sel_hi:[1,0,0]
	ds_read2_b64 v[46:49], v75 offset0:32 offset1:140
	s_waitcnt lgkmcnt(1)
	v_pk_mul_f32 v[84:85], v[44:45], v[50:51] op_sel:[0,1]
	v_mov_b32_e32 v69, v87
	v_pk_fma_f32 v[90:91], v[44:45], v[50:51], v[84:85] op_sel:[0,0,1] op_sel_hi:[1,1,0] neg_lo:[0,0,1] neg_hi:[0,0,1]
	v_pk_fma_f32 v[92:93], v[44:45], v[50:51], v[84:85] op_sel:[0,0,1] op_sel_hi:[1,0,0]
	s_waitcnt lgkmcnt(0)
	v_pk_mul_f32 v[44:45], v[48:49], v[12:13] op_sel_hi:[1,0]
	s_waitcnt vmcnt(2)
	v_mov_b32_e32 v12, v57
	v_pk_fma_f32 v[94:95], v[48:49], v[52:53], v[44:45] op_sel:[0,0,1] op_sel_hi:[1,1,0] neg_lo:[0,0,1] neg_hi:[0,0,1]
	v_pk_fma_f32 v[96:97], v[48:49], v[52:53], v[44:45] op_sel:[0,0,1] op_sel_hi:[1,0,0]
	v_pk_mul_f32 v[44:45], v[42:43], v[54:55] op_sel:[0,1]
	v_pk_mul_f32 v[48:49], v[46:47], v[12:13] op_sel_hi:[1,0]
	v_pk_fma_f32 v[98:99], v[42:43], v[54:55], v[44:45] op_sel:[0,0,1] op_sel_hi:[1,1,0] neg_lo:[0,0,1] neg_hi:[0,0,1]
	v_pk_fma_f32 v[100:101], v[42:43], v[54:55], v[44:45] op_sel:[0,0,1] op_sel_hi:[1,0,0]
	ds_read2_b64 v[42:45], v77 offset0:16 offset1:124
	v_pk_fma_f32 v[102:103], v[46:47], v[56:57], v[48:49] op_sel:[0,0,1] op_sel_hi:[1,1,0] neg_lo:[0,0,1] neg_hi:[0,0,1]
	v_pk_fma_f32 v[56:57], v[46:47], v[56:57], v[48:49] op_sel:[0,0,1] op_sel_hi:[1,0,0]
	ds_read2_b64 v[46:49], v27 offset0:72 offset1:180
	v_add_u16_e32 v85, 0x6c, v18
	v_mul_lo_u16_sdwa v1, v85, s10 dst_sel:DWORD dst_unused:UNUSED_PAD src0_sel:BYTE_0 src1_sel:DWORD
	v_lshrrev_b16_e32 v1, 9, v1
	v_mul_lo_u16_e32 v3, 3, v1
	s_waitcnt vmcnt(1) lgkmcnt(1)
	v_pk_mul_f32 v[50:51], v[44:45], v[58:59] op_sel:[0,1]
	v_mov_b32_e32 v12, v61
	v_sub_u16_e32 v3, v85, v3
	v_pk_fma_f32 v[104:105], v[44:45], v[58:59], v[50:51] op_sel:[0,0,1] op_sel_hi:[1,1,0] neg_lo:[0,0,1] neg_hi:[0,0,1]
	v_pk_fma_f32 v[58:59], v[44:45], v[58:59], v[50:51] op_sel:[0,0,1] op_sel_hi:[1,0,0]
	s_waitcnt lgkmcnt(0)
	v_pk_mul_f32 v[44:45], v[48:49], v[12:13] op_sel_hi:[1,0]
	v_lshlrev_b32_sdwa v7, v5, v3 dst_sel:DWORD dst_unused:UNUSED_PAD src0_sel:DWORD src1_sel:BYTE_0
	v_pk_fma_f32 v[106:107], v[48:49], v[60:61], v[44:45] op_sel:[0,0,1] op_sel_hi:[1,1,0] neg_lo:[0,0,1] neg_hi:[0,0,1]
	v_pk_fma_f32 v[60:61], v[48:49], v[60:61], v[44:45] op_sel:[0,0,1] op_sel_hi:[1,0,0]
	global_load_dwordx4 v[48:51], v7, s[8:9]
	v_mul_lo_u16_sdwa v7, v18, s10 dst_sel:DWORD dst_unused:UNUSED_PAD src0_sel:BYTE_0 src1_sel:DWORD
	v_lshrrev_b16_e32 v7, 9, v7
	v_mul_lo_u16_e32 v9, 3, v7
	s_waitcnt vmcnt(1)
	v_pk_mul_f32 v[44:45], v[42:43], v[62:63] op_sel:[0,1]
	v_mov_b32_e32 v12, v65
	v_sub_u16_e32 v9, v18, v9
	v_pk_fma_f32 v[108:109], v[42:43], v[62:63], v[44:45] op_sel:[0,0,1] op_sel_hi:[1,1,0] neg_lo:[0,0,1] neg_hi:[0,0,1]
	v_pk_fma_f32 v[62:63], v[42:43], v[62:63], v[44:45] op_sel:[0,0,1] op_sel_hi:[1,0,0]
	v_pk_mul_f32 v[42:43], v[46:47], v[12:13] op_sel_hi:[1,0]
	v_lshlrev_b32_sdwa v5, v5, v9 dst_sel:DWORD dst_unused:UNUSED_PAD src0_sel:DWORD src1_sel:BYTE_0
	v_pk_fma_f32 v[110:111], v[46:47], v[64:65], v[42:43] op_sel:[0,0,1] op_sel_hi:[1,1,0] neg_lo:[0,0,1] neg_hi:[0,0,1]
	v_pk_fma_f32 v[64:65], v[46:47], v[64:65], v[42:43] op_sel:[0,0,1] op_sel_hi:[1,0,0]
	global_load_dwordx4 v[42:45], v5, s[8:9]
	ds_read2_b64 v[52:55], v74 offset0:56 offset1:164
	v_mov_b32_e32 v84, 3
	v_mul_u32_u24_e32 v5, 0x48, v7
	v_lshlrev_b32_sdwa v7, v84, v9 dst_sel:DWORD dst_unused:UNUSED_PAD src0_sel:DWORD src1_sel:BYTE_0
	v_add3_u32 v5, 0, v5, v7
	v_mul_u32_u24_e32 v1, 0x48, v1
	v_lshlrev_b32_sdwa v3, v84, v3 dst_sel:DWORD dst_unused:UNUSED_PAD src0_sel:DWORD src1_sel:BYTE_0
	v_add3_u32 v1, 0, v1, v3
	v_mov_b32_e32 v109, v63
	v_mov_b32_e32 v111, v65
	s_mov_b32 s10, 0x5040100
	v_lshlrev_b32_e32 v3, 3, v144
	v_mov_b32_e32 v105, v59
	v_mov_b32_e32 v107, v61
	v_mov_b32_e32 v99, v101
	v_mov_b32_e32 v103, v57
	v_mov_b32_e32 v91, v93
	v_mov_b32_e32 v95, v97
	v_mov_b32_e32 v89, v67
	v_lshlrev_b32_e32 v11, 3, v134
	v_mov_b32_e32 v7, v35
	s_waitcnt vmcnt(1) lgkmcnt(0)
	v_pk_mul_f32 v[46:47], v[54:55], v[48:49] op_sel:[0,1]
	s_nop 0
	v_pk_fma_f32 v[112:113], v[54:55], v[48:49], v[46:47] op_sel:[0,0,1] op_sel_hi:[1,1,0] neg_lo:[0,0,1] neg_hi:[0,0,1]
	v_pk_fma_f32 v[54:55], v[54:55], v[48:49], v[46:47] op_sel:[0,0,1] op_sel_hi:[1,0,0]
	ds_read2_b64 v[46:49], v73 offset0:112 offset1:220
	v_mov_b32_e32 v12, v51
	v_mov_b32_e32 v113, v55
	s_waitcnt lgkmcnt(0)
	v_pk_mul_f32 v[114:115], v[48:49], v[12:13] op_sel_hi:[1,0]
	s_nop 0
	v_pk_fma_f32 v[116:117], v[48:49], v[50:51], v[114:115] op_sel:[0,0,1] op_sel_hi:[1,1,0] neg_lo:[0,0,1] neg_hi:[0,0,1]
	v_pk_fma_f32 v[50:51], v[48:49], v[50:51], v[114:115] op_sel:[0,0,1] op_sel_hi:[1,0,0]
	s_waitcnt vmcnt(0)
	v_pk_mul_f32 v[48:49], v[42:43], v[52:53] op_sel:[0,1]
	v_mov_b32_e32 v12, v45
	v_pk_fma_f32 v[114:115], v[42:43], v[52:53], v[48:49] op_sel:[0,0,1] op_sel_hi:[1,1,0] neg_lo:[0,0,1] neg_hi:[0,0,1]
	v_pk_fma_f32 v[42:43], v[42:43], v[52:53], v[48:49] op_sel:[0,0,1] op_sel_hi:[1,0,0]
	v_pk_mul_f32 v[48:49], v[46:47], v[12:13] op_sel_hi:[1,0]
	v_mov_b32_e32 v115, v43
	v_pk_fma_f32 v[52:53], v[46:47], v[44:45], v[48:49] op_sel:[0,0,1] op_sel_hi:[1,1,0] neg_lo:[0,0,1] neg_hi:[0,0,1]
	v_pk_fma_f32 v[44:45], v[46:47], v[44:45], v[48:49] op_sel:[0,0,1] op_sel_hi:[1,0,0]
	v_mov_b32_e32 v117, v51
	v_mov_b32_e32 v53, v45
	ds_read2_b64 v[42:45], v70 offset1:108
	v_pk_add_f32 v[48:49], v[114:115], v[52:53] neg_lo:[0,1] neg_hi:[0,1]
	v_pk_add_f32 v[50:51], v[112:113], v[116:117] neg_lo:[0,1] neg_hi:[0,1]
	s_waitcnt lgkmcnt(0)
	v_pk_add_f32 v[46:47], v[42:43], v[114:115]
	s_nop 0
	v_pk_add_f32 v[118:119], v[46:47], v[52:53]
	v_pk_add_f32 v[46:47], v[114:115], v[52:53]
	v_pk_mul_f32 v[50:51], v[50:51], s[4:5] op_sel_hi:[1,0]
	v_pk_fma_f32 v[42:43], v[46:47], 0.5, v[42:43] op_sel_hi:[1,0,1] neg_lo:[1,0,0] neg_hi:[1,0,0]
	v_pk_mul_f32 v[46:47], v[48:49], s[4:5] op_sel_hi:[1,0]
	s_nop 0
	v_pk_add_f32 v[52:53], v[42:43], v[46:47] op_sel:[0,1] op_sel_hi:[1,0]
	v_pk_add_f32 v[42:43], v[42:43], v[46:47] op_sel:[0,1] op_sel_hi:[1,0] neg_lo:[0,1] neg_hi:[0,1]
	ds_read_b64 v[114:115], v37
	ds_read_b64 v[120:121], v40
	;; [unrolled: 1-line block ×6, first 2 shown]
	ds_read2_b64 v[46:49], v83 offset0:96 offset1:204
	v_mov_b32_e32 v131, v43
	v_mov_b32_e32 v43, v53
	s_waitcnt lgkmcnt(0)
	s_barrier
	ds_write_b64 v5, v[42:43] offset:48
	v_pk_add_f32 v[42:43], v[112:113], v[116:117]
	v_mov_b32_e32 v130, v52
	v_pk_fma_f32 v[42:43], v[42:43], 0.5, v[44:45] op_sel_hi:[1,0,1] neg_lo:[1,0,0] neg_hi:[1,0,0]
	v_pk_add_f32 v[44:45], v[44:45], v[112:113]
	v_pk_add_f32 v[52:53], v[42:43], v[50:51] op_sel:[0,1] op_sel_hi:[1,0]
	v_pk_add_f32 v[42:43], v[42:43], v[50:51] op_sel:[0,1] op_sel_hi:[1,0] neg_lo:[0,1] neg_hi:[0,1]
	v_pk_add_f32 v[44:45], v[44:45], v[116:117]
	v_mov_b32_e32 v50, v52
	v_mov_b32_e32 v51, v43
	v_mov_b32_e32 v43, v53
	ds_write2_b64 v5, v[118:119], v[130:131] offset1:3
	ds_write2_b64 v1, v[44:45], v[50:51] offset1:3
	ds_write_b64 v1, v[42:43] offset:48
	v_pk_add_f32 v[42:43], v[108:109], v[110:111]
	v_pk_add_f32 v[50:51], v[108:109], v[110:111] neg_lo:[0,1] neg_hi:[0,1]
	v_perm_b32 v1, v141, v143, s10
	v_pk_fma_f32 v[42:43], v[42:43], 0.5, v[128:129] op_sel_hi:[1,0,1] neg_lo:[1,0,0] neg_hi:[1,0,0]
	v_pk_mul_f32 v[50:51], v[50:51], s[4:5] op_sel_hi:[1,0]
	v_pk_mul_lo_u16 v1, v1, s12 op_sel_hi:[1,0]
	v_pk_add_f32 v[44:45], v[128:129], v[108:109]
	v_pk_add_f32 v[52:53], v[42:43], v[50:51] op_sel:[0,1] op_sel_hi:[1,0]
	v_pk_add_f32 v[42:43], v[42:43], v[50:51] op_sel:[0,1] op_sel_hi:[1,0] neg_lo:[0,1] neg_hi:[0,1]
	v_and_b32_e32 v5, 0xfff8, v1
	v_pk_add_f32 v[44:45], v[44:45], v[110:111]
	v_add3_u32 v3, 0, v5, v3
	v_mov_b32_e32 v50, v52
	v_mov_b32_e32 v51, v43
	;; [unrolled: 1-line block ×3, first 2 shown]
	ds_write2_b64 v3, v[44:45], v[50:51] offset1:3
	ds_write_b64 v3, v[42:43] offset:48
	v_pk_add_f32 v[42:43], v[104:105], v[106:107]
	v_pk_add_f32 v[50:51], v[104:105], v[106:107] neg_lo:[0,1] neg_hi:[0,1]
	v_pk_fma_f32 v[42:43], v[42:43], 0.5, v[126:127] op_sel_hi:[1,0,1] neg_lo:[1,0,0] neg_hi:[1,0,0]
	v_pk_mul_f32 v[50:51], v[50:51], s[4:5] op_sel_hi:[1,0]
	v_pk_add_f32 v[44:45], v[126:127], v[104:105]
	v_pk_add_f32 v[52:53], v[42:43], v[50:51] op_sel:[0,1] op_sel_hi:[1,0]
	v_pk_add_f32 v[42:43], v[42:43], v[50:51] op_sel:[0,1] op_sel_hi:[1,0] neg_lo:[0,1] neg_hi:[0,1]
	v_lshrrev_b32_e32 v1, 16, v1
	v_lshlrev_b32_e32 v3, 3, v142
	v_pk_add_f32 v[44:45], v[44:45], v[106:107]
	v_add3_u32 v1, 0, v1, v3
	v_mov_b32_e32 v50, v52
	v_mov_b32_e32 v51, v43
	;; [unrolled: 1-line block ×3, first 2 shown]
	ds_write2_b64 v1, v[44:45], v[50:51] offset1:3
	ds_write_b64 v1, v[42:43] offset:48
	v_pk_add_f32 v[42:43], v[98:99], v[102:103]
	v_pk_add_f32 v[50:51], v[98:99], v[102:103] neg_lo:[0,1] neg_hi:[0,1]
	v_perm_b32 v1, v137, v139, s10
	v_pk_fma_f32 v[42:43], v[42:43], 0.5, v[124:125] op_sel_hi:[1,0,1] neg_lo:[1,0,0] neg_hi:[1,0,0]
	v_pk_mul_f32 v[50:51], v[50:51], s[4:5] op_sel_hi:[1,0]
	v_pk_mul_lo_u16 v1, v1, s12 op_sel_hi:[1,0]
	v_pk_add_f32 v[44:45], v[124:125], v[98:99]
	v_pk_add_f32 v[52:53], v[42:43], v[50:51] op_sel:[0,1] op_sel_hi:[1,0]
	v_pk_add_f32 v[42:43], v[42:43], v[50:51] op_sel:[0,1] op_sel_hi:[1,0] neg_lo:[0,1] neg_hi:[0,1]
	v_lshlrev_b32_e32 v3, 3, v140
	v_and_b32_e32 v5, 0xfff8, v1
	v_pk_add_f32 v[44:45], v[44:45], v[102:103]
	v_add3_u32 v3, 0, v5, v3
	v_mov_b32_e32 v50, v52
	v_mov_b32_e32 v51, v43
	;; [unrolled: 1-line block ×3, first 2 shown]
	ds_write2_b64 v3, v[44:45], v[50:51] offset1:3
	ds_write_b64 v3, v[42:43] offset:48
	v_pk_add_f32 v[42:43], v[90:91], v[94:95]
	v_pk_add_f32 v[50:51], v[90:91], v[94:95] neg_lo:[0,1] neg_hi:[0,1]
	v_pk_fma_f32 v[42:43], v[42:43], 0.5, v[122:123] op_sel_hi:[1,0,1] neg_lo:[1,0,0] neg_hi:[1,0,0]
	v_pk_mul_f32 v[50:51], v[50:51], s[4:5] op_sel_hi:[1,0]
	v_pk_add_f32 v[44:45], v[122:123], v[90:91]
	v_pk_add_f32 v[52:53], v[42:43], v[50:51] op_sel:[0,1] op_sel_hi:[1,0]
	v_pk_add_f32 v[42:43], v[42:43], v[50:51] op_sel:[0,1] op_sel_hi:[1,0] neg_lo:[0,1] neg_hi:[0,1]
	v_lshrrev_b32_e32 v1, 16, v1
	v_lshlrev_b32_e32 v3, 3, v138
	v_pk_add_f32 v[44:45], v[44:45], v[94:95]
	v_add3_u32 v1, 0, v1, v3
	v_mov_b32_e32 v50, v52
	v_mov_b32_e32 v51, v43
	;; [unrolled: 1-line block ×3, first 2 shown]
	ds_write2_b64 v1, v[44:45], v[50:51] offset1:3
	ds_write_b64 v1, v[42:43] offset:48
	v_perm_b32 v1, v133, v135, s10
	v_pk_mul_lo_u16 v9, v1, s12 op_sel_hi:[1,0]
	v_pk_add_f32 v[42:43], v[68:69], v[88:89]
	v_pk_add_f32 v[50:51], v[68:69], v[88:89] neg_lo:[0,1] neg_hi:[0,1]
	v_and_b32_e32 v3, 0xfff8, v9
	v_lshrrev_b32_e32 v9, 16, v9
	v_pk_fma_f32 v[42:43], v[42:43], 0.5, v[120:121] op_sel_hi:[1,0,1] neg_lo:[1,0,0] neg_hi:[1,0,0]
	v_pk_mul_f32 v[50:51], v[50:51], s[4:5] op_sel_hi:[1,0]
	v_lshlrev_b32_e32 v1, 3, v136
	v_add3_u32 v32, 0, v9, v11
	v_mul_u32_u24_e32 v9, 0x48, v41
	v_lshlrev_b32_e32 v11, 3, v132
	v_pk_add_f32 v[44:45], v[120:121], v[68:69]
	v_pk_add_f32 v[52:53], v[42:43], v[50:51] op_sel:[0,1] op_sel_hi:[1,0]
	v_pk_add_f32 v[42:43], v[42:43], v[50:51] op_sel:[0,1] op_sel_hi:[1,0] neg_lo:[0,1] neg_hi:[0,1]
	v_add3_u32 v30, 0, v3, v1
	v_mov_b32_e32 v3, v33
	v_add3_u32 v33, 0, v9, v11
	v_mul_u32_u24_e32 v9, 0x48, v38
	v_lshlrev_b32_e32 v11, 3, v39
	v_pk_add_f32 v[44:45], v[44:45], v[88:89]
	v_mov_b32_e32 v50, v52
	v_mov_b32_e32 v51, v43
	v_add3_u32 v34, 0, v9, v11
	v_mov_b32_e32 v9, v29
	v_mov_b32_e32 v11, v31
	;; [unrolled: 1-line block ×3, first 2 shown]
	ds_write2_b64 v30, v[44:45], v[50:51] offset1:3
	v_pk_add_f32 v[28:29], v[114:115], v[8:9]
	ds_write_b64 v30, v[42:43] offset:48
	v_pk_add_f32 v[30:31], v[8:9], v[10:11]
	v_pk_add_f32 v[8:9], v[8:9], v[10:11] neg_lo:[0,1] neg_hi:[0,1]
	v_pk_fma_f32 v[30:31], v[30:31], 0.5, v[114:115] op_sel_hi:[1,0,1] neg_lo:[1,0,0] neg_hi:[1,0,0]
	v_pk_mul_f32 v[8:9], v[8:9], s[4:5] op_sel_hi:[1,0]
	v_pk_add_f32 v[28:29], v[28:29], v[10:11]
	v_pk_add_f32 v[10:11], v[30:31], v[8:9] op_sel:[0,1] op_sel_hi:[1,0]
	v_pk_add_f32 v[8:9], v[30:31], v[8:9] op_sel:[0,1] op_sel_hi:[1,0] neg_lo:[0,1] neg_hi:[0,1]
	v_mov_b32_e32 v1, v15
	v_mov_b32_e32 v31, v9
	;; [unrolled: 1-line block ×3, first 2 shown]
	v_pk_add_f32 v[14:15], v[46:47], v[2:3]
	ds_write_b64 v32, v[8:9] offset:48
	v_pk_add_f32 v[8:9], v[2:3], v[6:7]
	v_pk_add_f32 v[2:3], v[2:3], v[6:7] neg_lo:[0,1] neg_hi:[0,1]
	v_pk_fma_f32 v[8:9], v[8:9], 0.5, v[46:47] op_sel_hi:[1,0,1] neg_lo:[1,0,0] neg_hi:[1,0,0]
	v_pk_mul_f32 v[2:3], v[2:3], s[4:5] op_sel_hi:[1,0]
	v_mov_b32_e32 v5, v13
	v_pk_add_f32 v[14:15], v[14:15], v[6:7]
	v_pk_add_f32 v[6:7], v[8:9], v[2:3] op_sel:[0,1] op_sel_hi:[1,0]
	v_pk_add_f32 v[2:3], v[8:9], v[2:3] op_sel:[0,1] op_sel_hi:[1,0] neg_lo:[0,1] neg_hi:[0,1]
	v_pk_add_f32 v[12:13], v[48:49], v[4:5]
	v_mov_b32_e32 v30, v10
	v_mov_b32_e32 v9, v3
	;; [unrolled: 1-line block ×3, first 2 shown]
	v_pk_add_f32 v[12:13], v[12:13], v[0:1]
	ds_write2_b64 v32, v[28:29], v[30:31] offset1:3
	ds_write_b64 v33, v[2:3] offset:48
	v_pk_add_f32 v[2:3], v[4:5], v[0:1]
	v_pk_add_f32 v[0:1], v[4:5], v[0:1] neg_lo:[0,1] neg_hi:[0,1]
	v_pk_fma_f32 v[2:3], v[2:3], 0.5, v[48:49] op_sel_hi:[1,0,1] neg_lo:[1,0,0] neg_hi:[1,0,0]
	v_pk_mul_f32 v[0:1], v[0:1], s[4:5] op_sel_hi:[1,0]
	v_mov_b32_e32 v8, v6
	v_pk_add_f32 v[4:5], v[2:3], v[0:1] op_sel:[0,1] op_sel_hi:[1,0]
	v_pk_add_f32 v[0:1], v[2:3], v[0:1] op_sel:[0,1] op_sel_hi:[1,0] neg_lo:[0,1] neg_hi:[0,1]
	s_mov_b32 s10, 0xe38f
	v_mov_b32_e32 v3, v1
	v_mov_b32_e32 v1, v5
	ds_write2_b64 v33, v[14:15], v[8:9] offset1:3
	ds_write_b64 v34, v[0:1] offset:48
	v_mul_u32_u24_sdwa v0, v22, s10 dst_sel:DWORD dst_unused:UNUSED_PAD src0_sel:WORD_0 src1_sel:DWORD
	v_lshrrev_b32_e32 v86, 19, v0
	v_mul_lo_u16_e32 v0, 9, v86
	v_sub_u16_e32 v87, v22, v0
	v_mov_b32_e32 v8, 57
	v_mul_u32_u24_e32 v0, 9, v87
	v_lshlrev_b32_e32 v41, 3, v0
	v_mul_lo_u16_sdwa v0, v85, v8 dst_sel:DWORD dst_unused:UNUSED_PAD src0_sel:BYTE_0 src1_sel:DWORD
	v_mov_b32_e32 v2, v4
	v_lshrrev_b16_e32 v88, 9, v0
	ds_write2_b64 v34, v[12:13], v[2:3] offset1:3
	s_waitcnt lgkmcnt(0)
	s_barrier
	global_load_dwordx4 v[4:7], v41, s[8:9] offset:48
	v_mul_lo_u16_e32 v0, 9, v88
	v_mov_b32_e32 v9, 9
	v_sub_u16_e32 v89, v85, v0
	v_mul_u32_u24_sdwa v0, v89, v9 dst_sel:DWORD dst_unused:UNUSED_PAD src0_sel:BYTE_0 src1_sel:DWORD
	v_lshlrev_b32_e32 v62, 3, v0
	global_load_dwordx4 v[0:3], v62, s[8:9] offset:48
	global_load_dwordx2 v[38:39], v41, s[8:9] offset:112
	global_load_dwordx2 v[46:47], v62, s[8:9] offset:112
	v_mul_lo_u16_sdwa v8, v18, v8 dst_sel:DWORD dst_unused:UNUSED_PAD src0_sel:BYTE_0 src1_sel:DWORD
	v_lshrrev_b16_e32 v154, 9, v8
	v_mul_lo_u16_e32 v8, 9, v154
	v_sub_u16_e32 v155, v18, v8
	v_mul_u32_u24_sdwa v8, v155, v9 dst_sel:DWORD dst_unused:UNUSED_PAD src0_sel:BYTE_0 src1_sel:DWORD
	v_lshlrev_b32_e32 v120, 3, v8
	global_load_dwordx4 v[8:11], v120, s[8:9] offset:48
	global_load_dwordx4 v[12:15], v120, s[8:9] offset:64
	;; [unrolled: 1-line block ×6, first 2 shown]
	ds_read2_b64 v[32:35], v36 offset0:48 offset1:156
	v_add_u32_e32 v28, 0x1400, v70
	ds_read2_b64 v[42:45], v28 offset0:116 offset1:224
	ds_read2_b64 v[50:53], v80 offset0:80 offset1:188
	global_load_dwordx2 v[98:99], v120, s[8:9] offset:112
	global_load_dwordx4 v[94:97], v62, s[8:9] offset:96
	s_mov_b32 s12, 0x3f737871
	s_mov_b32 s10, 0x3e9e377a
	;; [unrolled: 1-line block ×3, first 2 shown]
	s_waitcnt vmcnt(11) lgkmcnt(2)
	v_pk_mul_f32 v[30:31], v[34:35], v[4:5] op_sel:[0,1]
	s_nop 0
	v_pk_fma_f32 v[28:29], v[34:35], v[4:5], v[30:31] op_sel:[0,0,1] op_sel_hi:[1,1,0] neg_lo:[0,0,1] neg_hi:[0,0,1]
	v_pk_fma_f32 v[30:31], v[34:35], v[4:5], v[30:31] op_sel:[0,0,1] op_sel_hi:[1,0,0]
	v_mov_b32_e32 v4, v7
	s_waitcnt lgkmcnt(1)
	v_pk_mul_f32 v[34:35], v[44:45], v[4:5] op_sel_hi:[1,0]
	s_waitcnt vmcnt(10)
	v_pk_mul_f32 v[36:37], v[32:33], v[0:1] op_sel:[0,1]
	v_pk_fma_f32 v[4:5], v[44:45], v[6:7], v[34:35] op_sel:[0,0,1] op_sel_hi:[1,1,0] neg_lo:[0,0,1] neg_hi:[0,0,1]
	v_pk_fma_f32 v[6:7], v[44:45], v[6:7], v[34:35] op_sel:[0,0,1] op_sel_hi:[1,0,0]
	v_pk_fma_f32 v[34:35], v[32:33], v[0:1], v[36:37] op_sel:[0,0,1] op_sel_hi:[1,1,0] neg_lo:[0,0,1] neg_hi:[0,0,1]
	v_pk_fma_f32 v[44:45], v[32:33], v[0:1], v[36:37] op_sel:[0,0,1] op_sel_hi:[1,0,0]
	v_mov_b32_e32 v0, v3
	v_pk_mul_f32 v[0:1], v[42:43], v[0:1] op_sel_hi:[1,0]
	s_waitcnt vmcnt(8) lgkmcnt(0)
	v_pk_mul_f32 v[32:33], v[50:51], v[46:47] op_sel:[0,1]
	v_pk_fma_f32 v[36:37], v[42:43], v[2:3], v[0:1] op_sel:[0,0,1] op_sel_hi:[1,1,0] neg_lo:[0,0,1] neg_hi:[0,0,1]
	v_pk_fma_f32 v[48:49], v[42:43], v[2:3], v[0:1] op_sel:[0,0,1] op_sel_hi:[1,0,0]
	ds_read_b64 v[42:43], v71
	v_pk_mul_f32 v[2:3], v[52:53], v[38:39] op_sel:[0,1]
	v_mov_b32_e32 v37, v49
	v_pk_fma_f32 v[0:1], v[52:53], v[38:39], v[2:3] op_sel:[0,0,1] op_sel_hi:[1,1,0] neg_lo:[0,0,1] neg_hi:[0,0,1]
	v_pk_fma_f32 v[2:3], v[52:53], v[38:39], v[2:3] op_sel:[0,0,1] op_sel_hi:[1,0,0]
	v_pk_fma_f32 v[38:39], v[50:51], v[46:47], v[32:33] op_sel:[0,0,1] op_sel_hi:[1,1,0] neg_lo:[0,0,1] neg_hi:[0,0,1]
	v_pk_fma_f32 v[52:53], v[50:51], v[46:47], v[32:33] op_sel:[0,0,1] op_sel_hi:[1,0,0]
	ds_read_b64 v[46:47], v40
	ds_read_b64 v[32:33], v72
	v_add_u32_e32 v1, 0x1c00, v70
	s_waitcnt vmcnt(7) lgkmcnt(2)
	v_pk_mul_f32 v[50:51], v[8:9], v[42:43] op_sel:[0,1]
	ds_read2_b32 v[62:63], v1 offset0:152 offset1:153
	v_pk_fma_f32 v[100:101], v[8:9], v[42:43], v[50:51] op_sel:[0,0,1] op_sel_hi:[1,1,0] neg_lo:[0,0,1] neg_hi:[0,0,1]
	v_pk_fma_f32 v[102:103], v[8:9], v[42:43], v[50:51] op_sel:[0,0,1] op_sel_hi:[1,0,0]
	s_waitcnt lgkmcnt(2)
	v_pk_mul_f32 v[8:9], v[10:11], v[46:47] op_sel:[0,1]
	v_mov_b32_e32 v101, v103
	v_pk_fma_f32 v[104:105], v[10:11], v[46:47], v[8:9] op_sel:[0,0,1] op_sel_hi:[1,1,0] neg_lo:[0,0,1] neg_hi:[0,0,1]
	v_pk_fma_f32 v[106:107], v[10:11], v[46:47], v[8:9] op_sel:[0,0,1] op_sel_hi:[1,0,0]
	ds_read2_b64 v[8:11], v77 offset0:16 offset1:124
	s_waitcnt lgkmcnt(1)
	v_mov_b32_e32 v2, v63
	s_waitcnt vmcnt(6)
	v_pk_mul_f32 v[42:43], v[2:3], v[12:13] op_sel_hi:[0,1]
	v_mov_b32_e32 v2, v15
	v_pk_fma_f32 v[108:109], v[12:13], v[62:63], v[42:43] op_sel:[0,0,1] op_sel_hi:[1,1,0] neg_lo:[0,0,1] neg_hi:[0,0,1]
	v_pk_fma_f32 v[110:111], v[12:13], v[62:63], v[42:43] op_sel:[0,0,1] op_sel_hi:[1,0,0]
	s_waitcnt lgkmcnt(0)
	v_pk_mul_f32 v[12:13], v[8:9], v[2:3] op_sel_hi:[1,0]
	s_waitcnt vmcnt(5)
	v_mov_b32_e32 v2, v57
	v_pk_fma_f32 v[112:113], v[8:9], v[14:15], v[12:13] op_sel:[0,0,1] op_sel_hi:[1,1,0] neg_lo:[0,0,1] neg_hi:[0,0,1]
	v_pk_fma_f32 v[114:115], v[8:9], v[14:15], v[12:13] op_sel:[0,0,1] op_sel_hi:[1,0,0]
	ds_read2_b64 v[12:15], v74 offset0:56 offset1:164
	v_pk_mul_f32 v[8:9], v[10:11], v[2:3] op_sel_hi:[1,0]
	s_waitcnt vmcnt(4)
	v_mov_b32_e32 v2, v61
	v_pk_fma_f32 v[64:65], v[10:11], v[56:57], v[8:9] op_sel:[0,0,1] op_sel_hi:[1,1,0] neg_lo:[0,0,1] neg_hi:[0,0,1]
	v_pk_fma_f32 v[116:117], v[10:11], v[56:57], v[8:9] op_sel:[0,0,1] op_sel_hi:[1,0,0]
	s_waitcnt lgkmcnt(0)
	v_pk_mul_f32 v[8:9], v[12:13], v[54:55] op_sel:[0,1]
	v_pk_mul_f32 v[10:11], v[14:15], v[58:59] op_sel:[0,1]
	v_pk_fma_f32 v[62:63], v[12:13], v[54:55], v[8:9] op_sel:[0,0,1] op_sel_hi:[1,1,0] neg_lo:[0,0,1] neg_hi:[0,0,1]
	v_pk_fma_f32 v[118:119], v[12:13], v[54:55], v[8:9] op_sel:[0,0,1] op_sel_hi:[1,0,0]
	ds_read2_b64 v[54:57], v79 offset0:104 offset1:212
	v_pk_fma_f32 v[8:9], v[14:15], v[58:59], v[10:11] op_sel:[0,0,1] op_sel_hi:[1,1,0] neg_lo:[0,0,1] neg_hi:[0,0,1]
	v_pk_fma_f32 v[46:47], v[14:15], v[58:59], v[10:11] op_sel:[0,0,1] op_sel_hi:[1,0,0]
	v_mov_b32_e32 v105, v107
	v_mov_b32_e32 v113, v115
	s_waitcnt lgkmcnt(0)
	v_pk_mul_f32 v[12:13], v[54:55], v[2:3] op_sel_hi:[1,0]
	s_waitcnt vmcnt(3)
	v_pk_mul_f32 v[42:43], v[56:57], v[66:67] op_sel:[0,1]
	v_pk_fma_f32 v[10:11], v[54:55], v[60:61], v[12:13] op_sel:[0,0,1] op_sel_hi:[1,1,0] neg_lo:[0,0,1] neg_hi:[0,0,1]
	v_pk_fma_f32 v[50:51], v[54:55], v[60:61], v[12:13] op_sel:[0,0,1] op_sel_hi:[1,0,0]
	ds_read2_b64 v[12:15], v82 offset0:24 offset1:132
	v_mov_b32_e32 v2, v69
	global_load_dwordx4 v[58:61], v120, s[8:9] offset:96
	v_pk_fma_f32 v[120:121], v[56:57], v[66:67], v[42:43] op_sel:[0,0,1] op_sel_hi:[1,1,0] neg_lo:[0,0,1] neg_hi:[0,0,1]
	v_pk_fma_f32 v[122:123], v[56:57], v[66:67], v[42:43] op_sel:[0,0,1] op_sel_hi:[1,0,0]
	s_waitcnt lgkmcnt(0)
	v_pk_mul_f32 v[42:43], v[12:13], v[2:3] op_sel_hi:[1,0]
	s_waitcnt vmcnt(3)
	v_mov_b32_e32 v2, v93
	v_pk_fma_f32 v[124:125], v[12:13], v[68:69], v[42:43] op_sel:[0,0,1] op_sel_hi:[1,1,0] neg_lo:[0,0,1] neg_hi:[0,0,1]
	v_pk_fma_f32 v[126:127], v[12:13], v[68:69], v[42:43] op_sel:[0,0,1] op_sel_hi:[1,0,0]
	v_pk_mul_f32 v[12:13], v[14:15], v[2:3] op_sel_hi:[1,0]
	v_mov_b32_e32 v125, v127
	v_pk_fma_f32 v[66:67], v[14:15], v[92:93], v[12:13] op_sel:[0,0,1] op_sel_hi:[1,1,0] neg_lo:[0,0,1] neg_hi:[0,0,1]
	v_pk_fma_f32 v[128:129], v[14:15], v[92:93], v[12:13] op_sel:[0,0,1] op_sel_hi:[1,0,0]
	ds_read2_b64 v[12:15], v81 offset0:64 offset1:172
	v_mov_b32_e32 v109, v111
	v_mov_b32_e32 v121, v123
	v_mul_u32_u24_e32 v1, 0x2d0, v154
	v_mov_b32_e32 v65, v117
	s_waitcnt lgkmcnt(0)
	v_pk_mul_f32 v[42:43], v[12:13], v[90:91] op_sel:[0,1]
	v_mov_b32_e32 v67, v129
	v_pk_fma_f32 v[68:69], v[12:13], v[90:91], v[42:43] op_sel:[0,0,1] op_sel_hi:[1,1,0] neg_lo:[0,0,1] neg_hi:[0,0,1]
	v_pk_fma_f32 v[130:131], v[12:13], v[90:91], v[42:43] op_sel:[0,0,1] op_sel_hi:[1,0,0]
	global_load_dwordx4 v[54:57], v41, s[8:9] offset:80
	global_load_dwordx4 v[90:93], v41, s[8:9] offset:96
	v_mov_b32_e32 v35, v45
	v_pk_add_f32 v[44:45], v[36:37], v[64:65] neg_lo:[0,1] neg_hi:[0,1]
	v_mov_b32_e32 v39, v53
	v_mov_b32_e32 v63, v119
	;; [unrolled: 1-line block ×7, first 2 shown]
	s_waitcnt vmcnt(1)
	v_pk_mul_f32 v[40:41], v[14:15], v[54:55] op_sel:[0,1]
	s_nop 0
	v_pk_fma_f32 v[12:13], v[14:15], v[54:55], v[40:41] op_sel:[0,0,1] op_sel_hi:[1,1,0] neg_lo:[0,0,1] neg_hi:[0,0,1]
	v_pk_fma_f32 v[54:55], v[14:15], v[54:55], v[40:41] op_sel:[0,0,1] op_sel_hi:[1,0,0]
	ds_read2_b64 v[40:43], v73 offset0:112 offset1:220
	v_mov_b32_e32 v2, v57
	v_mov_b32_e32 v13, v55
	s_waitcnt lgkmcnt(0)
	v_pk_mul_f32 v[132:133], v[40:41], v[2:3] op_sel_hi:[1,0]
	s_nop 0
	v_pk_fma_f32 v[14:15], v[40:41], v[56:57], v[132:133] op_sel:[0,0,1] op_sel_hi:[1,1,0] neg_lo:[0,0,1] neg_hi:[0,0,1]
	v_pk_fma_f32 v[56:57], v[40:41], v[56:57], v[132:133] op_sel:[0,0,1] op_sel_hi:[1,0,0]
	v_pk_mul_f32 v[40:41], v[42:43], v[58:59] op_sel:[0,1]
	v_mov_b32_e32 v2, v61
	v_pk_fma_f32 v[132:133], v[42:43], v[58:59], v[40:41] op_sel:[0,0,1] op_sel_hi:[1,1,0] neg_lo:[0,0,1] neg_hi:[0,0,1]
	v_pk_fma_f32 v[134:135], v[42:43], v[58:59], v[40:41] op_sel:[0,0,1] op_sel_hi:[1,0,0]
	ds_read2_b64 v[40:43], v75 offset0:32 offset1:140
	v_mov_b32_e32 v133, v135
	v_mov_b32_e32 v15, v57
	s_waitcnt lgkmcnt(0)
	v_pk_mul_f32 v[58:59], v[40:41], v[2:3] op_sel_hi:[1,0]
	v_mov_b32_e32 v2, v97
	v_pk_fma_f32 v[136:137], v[40:41], v[60:61], v[58:59] op_sel:[0,0,1] op_sel_hi:[1,1,0] neg_lo:[0,0,1] neg_hi:[0,0,1]
	v_pk_fma_f32 v[138:139], v[40:41], v[60:61], v[58:59] op_sel:[0,0,1] op_sel_hi:[1,0,0]
	v_pk_mul_f32 v[40:41], v[42:43], v[2:3] op_sel_hi:[1,0]
	s_waitcnt vmcnt(0)
	v_mov_b32_e32 v2, v93
	v_pk_fma_f32 v[140:141], v[42:43], v[96:97], v[40:41] op_sel:[0,0,1] op_sel_hi:[1,1,0] neg_lo:[0,0,1] neg_hi:[0,0,1]
	v_pk_fma_f32 v[142:143], v[42:43], v[96:97], v[40:41] op_sel:[0,0,1] op_sel_hi:[1,0,0]
	ds_read2_b64 v[40:43], v27 offset0:72 offset1:180
	v_mov_b32_e32 v137, v139
	v_pk_add_f32 v[102:103], v[104:105], v[136:137] neg_lo:[0,1] neg_hi:[0,1]
	v_mov_b32_e32 v141, v143
	v_pk_mul_f32 v[106:107], v[102:103], s[12:13] op_sel_hi:[1,0]
	s_waitcnt lgkmcnt(0)
	v_pk_mul_f32 v[58:59], v[40:41], v[94:95] op_sel:[0,1]
	v_pk_mul_f32 v[102:103], v[102:103], s[16:17] op_sel_hi:[1,0]
	v_pk_fma_f32 v[144:145], v[40:41], v[94:95], v[58:59] op_sel:[0,0,1] op_sel_hi:[1,1,0] neg_lo:[0,0,1] neg_hi:[0,0,1]
	v_pk_fma_f32 v[146:147], v[40:41], v[94:95], v[58:59] op_sel:[0,0,1] op_sel_hi:[1,0,0]
	ds_read2_b64 v[94:97], v78 offset0:120 offset1:228
	v_pk_mul_f32 v[58:59], v[42:43], v[90:91] op_sel:[0,1]
	v_pk_add_f32 v[48:49], v[140:141], v[66:67] neg_lo:[0,1] neg_hi:[0,1]
	v_pk_fma_f32 v[40:41], v[42:43], v[90:91], v[58:59] op_sel:[0,0,1] op_sel_hi:[1,1,0] neg_lo:[0,0,1] neg_hi:[0,0,1]
	v_pk_fma_f32 v[58:59], v[42:43], v[90:91], v[58:59] op_sel:[0,0,1] op_sel_hi:[1,0,0]
	s_waitcnt lgkmcnt(0)
	v_pk_mul_f32 v[60:61], v[94:95], v[2:3] op_sel_hi:[1,0]
	v_pk_mul_f32 v[90:91], v[96:97], v[98:99] op_sel:[0,1]
	v_pk_fma_f32 v[42:43], v[94:95], v[92:93], v[60:61] op_sel:[0,0,1] op_sel_hi:[1,1,0] neg_lo:[0,0,1] neg_hi:[0,0,1]
	v_pk_fma_f32 v[60:61], v[94:95], v[92:93], v[60:61] op_sel:[0,0,1] op_sel_hi:[1,0,0]
	v_pk_fma_f32 v[94:95], v[96:97], v[98:99], v[90:91] op_sel:[0,0,1] op_sel_hi:[1,1,0] neg_lo:[0,0,1] neg_hi:[0,0,1]
	v_pk_fma_f32 v[90:91], v[96:97], v[98:99], v[90:91] op_sel:[0,0,1] op_sel_hi:[1,0,0]
	v_pk_add_f32 v[92:93], v[136:137], v[124:125] neg_lo:[0,1] neg_hi:[0,1]
	v_mov_b32_e32 v95, v91
	v_pk_add_f32 v[90:91], v[104:105], v[112:113] neg_lo:[0,1] neg_hi:[0,1]
	v_pk_add_f32 v[98:99], v[112:113], v[124:125]
	v_pk_add_f32 v[96:97], v[90:91], v[92:93]
	ds_read2_b64 v[90:93], v70 offset1:108
	v_pk_add_f32 v[122:123], v[94:95], v[132:133] neg_lo:[0,1] neg_hi:[0,1]
	v_pk_add_f32 v[126:127], v[108:109], v[94:95] neg_lo:[0,1] neg_hi:[0,1]
	v_lshlrev_b32_sdwa v2, v84, v155 dst_sel:DWORD dst_unused:UNUSED_PAD src0_sel:DWORD src1_sel:BYTE_0
	v_pk_mul_f32 v[134:135], v[126:127], s[12:13] op_sel_hi:[1,0]
	s_waitcnt lgkmcnt(0)
	v_pk_fma_f32 v[98:99], v[98:99], 0.5, v[90:91] op_sel_hi:[1,0,1] neg_lo:[1,0,0] neg_hi:[1,0,0]
	v_add3_u32 v1, 0, v1, v2
	v_pk_add_f32 v[110:111], v[98:99], v[106:107] op_sel:[0,1] op_sel_hi:[1,0]
	v_pk_add_f32 v[98:99], v[98:99], v[106:107] op_sel:[0,1] op_sel_hi:[1,0] neg_lo:[0,1] neg_hi:[0,1]
	v_pk_add_f32 v[106:107], v[112:113], v[124:125] neg_lo:[0,1] neg_hi:[0,1]
	s_nop 0
	v_pk_mul_f32 v[114:115], v[106:107], s[16:17] op_sel_hi:[1,0]
	s_barrier
	v_pk_add_f32 v[98:99], v[98:99], v[114:115] op_sel:[0,1] op_sel_hi:[1,0] neg_lo:[0,1] neg_hi:[0,1]
	v_pk_add_f32 v[110:111], v[110:111], v[114:115] op_sel:[0,1] op_sel_hi:[1,0]
	v_pk_add_f32 v[114:115], v[108:109], v[120:121] neg_lo:[0,1] neg_hi:[0,1]
	v_mov_b32_e32 v154, v110
	v_pk_add_f32 v[114:115], v[114:115], v[122:123]
	v_pk_add_f32 v[122:123], v[120:121], v[132:133]
	v_mov_b32_e32 v155, v99
	v_pk_fma_f32 v[122:123], v[122:123], 0.5, v[100:101] op_sel_hi:[1,0,1] neg_lo:[1,0,0] neg_hi:[1,0,0]
	v_mov_b32_e32 v99, v111
	v_pk_add_f32 v[138:139], v[122:123], v[134:135] op_sel:[0,1] op_sel_hi:[1,0]
	v_pk_add_f32 v[122:123], v[122:123], v[134:135] op_sel:[0,1] op_sel_hi:[1,0] neg_lo:[0,1] neg_hi:[0,1]
	v_pk_add_f32 v[134:135], v[120:121], v[132:133] neg_lo:[0,1] neg_hi:[0,1]
	v_pk_fma_f32 v[154:155], v[96:97], s[10:11], v[154:155] op_sel_hi:[1,0,1]
	v_pk_mul_f32 v[148:149], v[134:135], s[16:17] op_sel_hi:[1,0]
	v_pk_fma_f32 v[96:97], v[96:97], s[10:11], v[98:99] op_sel_hi:[1,0,1]
	v_pk_add_f32 v[122:123], v[122:123], v[148:149] op_sel:[0,1] op_sel_hi:[1,0] neg_lo:[0,1] neg_hi:[0,1]
	v_pk_add_f32 v[138:139], v[138:139], v[148:149] op_sel:[0,1] op_sel_hi:[1,0]
	v_mov_b32_e32 v149, v123
	v_mov_b32_e32 v148, v138
	v_pk_fma_f32 v[148:149], v[114:115], s[10:11], v[148:149] op_sel_hi:[1,0,1]
	v_mov_b32_e32 v123, v139
	v_pk_mul_f32 v[150:151], v[148:149], s[16:17] op_sel_hi:[1,0]
	v_pk_fma_f32 v[98:99], v[114:115], s[10:11], v[122:123] op_sel_hi:[1,0,1]
	v_pk_fma_f32 v[152:153], v[148:149], s[14:15], v[150:151] op_sel:[0,0,1] op_sel_hi:[1,0,0]
	v_pk_fma_f32 v[148:149], v[148:149], s[14:15], v[150:151] op_sel:[0,0,1] op_sel_hi:[1,0,0] neg_lo:[0,0,1] neg_hi:[0,0,1]
	v_pk_add_f32 v[150:151], v[100:101], v[108:109]
	v_mov_b32_e32 v153, v149
	v_pk_add_f32 v[148:149], v[90:91], v[104:105]
	v_pk_add_f32 v[150:151], v[150:151], v[120:121]
	;; [unrolled: 1-line block ×3, first 2 shown]
	v_pk_add_f32 v[112:113], v[112:113], v[104:105] neg_lo:[0,1] neg_hi:[0,1]
	v_pk_add_f32 v[148:149], v[148:149], v[124:125]
	v_pk_add_f32 v[104:105], v[104:105], v[136:137]
	v_pk_add_f32 v[124:125], v[124:125], v[136:137] neg_lo:[0,1] neg_hi:[0,1]
	v_pk_fma_f32 v[90:91], v[104:105], 0.5, v[90:91] op_sel_hi:[1,0,1] neg_lo:[1,0,0] neg_hi:[1,0,0]
	v_pk_add_f32 v[112:113], v[112:113], v[124:125]
	v_pk_add_f32 v[124:125], v[108:109], v[94:95]
	v_pk_mul_f32 v[104:105], v[106:107], s[12:13] op_sel_hi:[1,0]
	v_pk_fma_f32 v[100:101], v[124:125], 0.5, v[100:101] op_sel_hi:[1,0,1] neg_lo:[1,0,0] neg_hi:[1,0,0]
	v_pk_add_f32 v[106:107], v[90:91], v[104:105] op_sel:[0,1] op_sel_hi:[1,0] neg_lo:[0,1] neg_hi:[0,1]
	v_pk_add_f32 v[90:91], v[90:91], v[104:105] op_sel:[0,1] op_sel_hi:[1,0]
	v_pk_mul_f32 v[104:105], v[134:135], s[12:13] op_sel_hi:[1,0]
	v_pk_add_f32 v[150:151], v[150:151], v[132:133]
	v_pk_add_f32 v[90:91], v[90:91], v[102:103] op_sel:[0,1] op_sel_hi:[1,0] neg_lo:[0,1] neg_hi:[0,1]
	v_pk_add_f32 v[102:103], v[106:107], v[102:103] op_sel:[0,1] op_sel_hi:[1,0]
	v_pk_add_f32 v[106:107], v[100:101], v[104:105] op_sel:[0,1] op_sel_hi:[1,0] neg_lo:[0,1] neg_hi:[0,1]
	v_pk_add_f32 v[100:101], v[100:101], v[104:105] op_sel:[0,1] op_sel_hi:[1,0]
	v_pk_mul_f32 v[104:105], v[126:127], s[16:17] op_sel_hi:[1,0]
	v_pk_add_f32 v[150:151], v[150:151], v[94:95]
	v_pk_add_f32 v[108:109], v[120:121], v[108:109] neg_lo:[0,1] neg_hi:[0,1]
	v_pk_add_f32 v[94:95], v[132:133], v[94:95] neg_lo:[0,1] neg_hi:[0,1]
	v_pk_add_f32 v[100:101], v[100:101], v[104:105] op_sel:[0,1] op_sel_hi:[1,0] neg_lo:[0,1] neg_hi:[0,1]
	v_pk_add_f32 v[104:105], v[106:107], v[104:105] op_sel:[0,1] op_sel_hi:[1,0]
	v_pk_add_f32 v[94:95], v[108:109], v[94:95]
	v_mov_b32_e32 v106, v104
	v_mov_b32_e32 v107, v101
	v_pk_fma_f32 v[106:107], v[94:95], s[10:11], v[106:107] op_sel_hi:[1,0,1]
	v_mov_b32_e32 v101, v105
	v_pk_mul_f32 v[108:109], v[106:107], s[12:13] op_sel_hi:[1,0]
	v_pk_fma_f32 v[94:95], v[94:95], s[10:11], v[100:101] op_sel_hi:[1,0,1]
	v_pk_fma_f32 v[120:121], v[106:107], s[10:11], v[108:109] op_sel:[0,0,1] op_sel_hi:[1,0,0]
	v_pk_fma_f32 v[106:107], v[106:107], s[10:11], v[108:109] op_sel:[0,0,1] op_sel_hi:[1,0,0] neg_lo:[0,0,1] neg_hi:[0,0,1]
	v_pk_mul_f32 v[100:101], v[94:95], s[10:11] op_sel_hi:[1,0]
	v_mov_b32_e32 v121, v107
	v_mov_b32_e32 v106, v102
	v_mov_b32_e32 v107, v91
	v_mov_b32_e32 v91, v103
	v_pk_fma_f32 v[102:103], v[112:113], s[10:11], v[106:107] op_sel_hi:[1,0,1]
	v_pk_fma_f32 v[90:91], v[112:113], s[10:11], v[90:91] op_sel_hi:[1,0,1]
	v_pk_fma_f32 v[94:95], v[94:95], s[18:19], v[100:101] op_sel:[0,0,1] op_sel_hi:[1,1,0] neg_lo:[0,0,1] neg_hi:[0,0,1]
	v_pk_add_f32 v[100:101], v[102:103], v[120:121]
	v_pk_add_f32 v[104:105], v[90:91], v[94:95] op_sel:[0,1] op_sel_hi:[1,0]
	ds_write2_b64 v1, v[100:101], v[104:105] offset0:18 offset1:27
	v_pk_mul_f32 v[100:101], v[98:99], s[14:15] op_sel_hi:[1,0]
	v_pk_add_f32 v[90:91], v[90:91], v[94:95] op_sel:[0,1] op_sel_hi:[1,0] neg_lo:[0,1] neg_hi:[0,1]
	v_pk_fma_f32 v[98:99], v[98:99], s[20:21], v[100:101] op_sel:[0,0,1] op_sel_hi:[1,1,0] neg_lo:[0,0,1] neg_hi:[0,0,1]
	v_pk_add_f32 v[44:45], v[44:45], v[48:49]
	v_pk_add_f32 v[94:95], v[96:97], v[98:99] op_sel:[0,1] op_sel_hi:[1,0] neg_lo:[0,1] neg_hi:[0,1]
	v_pk_add_f32 v[48:49], v[64:65], v[66:67]
	v_pk_add_f32 v[52:53], v[36:37], v[140:141] neg_lo:[0,1] neg_hi:[0,1]
	ds_write2_b64 v1, v[90:91], v[94:95] offset0:72 offset1:81
	v_pk_fma_f32 v[48:49], v[48:49], 0.5, v[92:93] op_sel_hi:[1,0,1] neg_lo:[1,0,0] neg_hi:[1,0,0]
	v_pk_mul_f32 v[90:91], v[52:53], s[12:13] op_sel_hi:[1,0]
	v_pk_add_f32 v[148:149], v[148:149], v[136:137]
	v_pk_add_f32 v[94:95], v[48:49], v[90:91] op_sel:[0,1] op_sel_hi:[1,0]
	v_pk_add_f32 v[48:49], v[48:49], v[90:91] op_sel:[0,1] op_sel_hi:[1,0] neg_lo:[0,1] neg_hi:[0,1]
	v_pk_add_f32 v[90:91], v[64:65], v[66:67] neg_lo:[0,1] neg_hi:[0,1]
	v_pk_add_f32 v[100:101], v[148:149], v[150:151] neg_lo:[0,1] neg_hi:[0,1]
	v_pk_add_f32 v[104:105], v[96:97], v[98:99] op_sel:[0,1] op_sel_hi:[1,0]
	v_mov_b32_e32 v145, v147
	v_pk_mul_f32 v[96:97], v[90:91], s[16:17] op_sel_hi:[1,0]
	ds_write2_b64 v1, v[104:105], v[100:101] offset0:36 offset1:45
	v_pk_add_f32 v[100:101], v[154:155], v[152:153] neg_lo:[0,1] neg_hi:[0,1]
	v_pk_add_f32 v[102:103], v[102:103], v[120:121] neg_lo:[0,1] neg_hi:[0,1]
	v_pk_add_f32 v[48:49], v[48:49], v[96:97] op_sel:[0,1] op_sel_hi:[1,0] neg_lo:[0,1] neg_hi:[0,1]
	v_pk_add_f32 v[94:95], v[94:95], v[96:97] op_sel:[0,1] op_sel_hi:[1,0]
	v_pk_add_f32 v[96:97], v[62:63], v[68:69] neg_lo:[0,1] neg_hi:[0,1]
	v_pk_add_f32 v[98:99], v[38:39], v[144:145] neg_lo:[0,1] neg_hi:[0,1]
	ds_write2_b64 v1, v[100:101], v[102:103] offset0:54 offset1:63
	v_pk_add_f32 v[96:97], v[96:97], v[98:99]
	v_pk_add_f32 v[98:99], v[68:69], v[144:145]
	v_pk_add_f32 v[100:101], v[62:63], v[38:39] neg_lo:[0,1] neg_hi:[0,1]
	v_pk_fma_f32 v[98:99], v[98:99], 0.5, v[34:35] op_sel_hi:[1,0,1] neg_lo:[1,0,0] neg_hi:[1,0,0]
	v_pk_mul_f32 v[102:103], v[100:101], s[12:13] op_sel_hi:[1,0]
	v_pk_add_f32 v[156:157], v[148:149], v[150:151]
	v_pk_add_f32 v[104:105], v[98:99], v[102:103] op_sel:[0,1] op_sel_hi:[1,0]
	v_pk_add_f32 v[98:99], v[98:99], v[102:103] op_sel:[0,1] op_sel_hi:[1,0] neg_lo:[0,1] neg_hi:[0,1]
	v_pk_add_f32 v[102:103], v[68:69], v[144:145] neg_lo:[0,1] neg_hi:[0,1]
	v_pk_add_f32 v[158:159], v[154:155], v[152:153]
	v_pk_mul_f32 v[106:107], v[102:103], s[16:17] op_sel_hi:[1,0]
	ds_write2_b64 v1, v[156:157], v[158:159] offset1:9
	v_pk_add_f32 v[98:99], v[98:99], v[106:107] op_sel:[0,1] op_sel_hi:[1,0] neg_lo:[0,1] neg_hi:[0,1]
	v_pk_add_f32 v[104:105], v[104:105], v[106:107] op_sel:[0,1] op_sel_hi:[1,0]
	v_mov_b32_e32 v107, v99
	v_mov_b32_e32 v106, v104
	v_pk_fma_f32 v[106:107], v[96:97], s[10:11], v[106:107] op_sel_hi:[1,0,1]
	v_mul_u32_u24_e32 v1, 0x2d0, v88
	v_pk_mul_f32 v[108:109], v[106:107], s[16:17] op_sel_hi:[1,0]
	v_lshlrev_b32_sdwa v2, v84, v89 dst_sel:DWORD dst_unused:UNUSED_PAD src0_sel:DWORD src1_sel:BYTE_0
	v_pk_fma_f32 v[110:111], v[106:107], s[14:15], v[108:109] op_sel:[0,0,1] op_sel_hi:[1,0,0]
	v_pk_fma_f32 v[106:107], v[106:107], s[14:15], v[108:109] op_sel:[0,0,1] op_sel_hi:[1,0,0] neg_lo:[0,0,1] neg_hi:[0,0,1]
	v_pk_add_f32 v[88:89], v[92:93], v[36:37]
	v_mov_b32_e32 v111, v107
	v_pk_add_f32 v[106:107], v[34:35], v[62:63]
	v_pk_add_f32 v[88:89], v[88:89], v[64:65]
	;; [unrolled: 1-line block ×5, first 2 shown]
	v_mov_b32_e32 v108, v94
	v_mov_b32_e32 v109, v49
	v_pk_add_f32 v[88:89], v[88:89], v[140:141]
	v_pk_add_f32 v[106:107], v[106:107], v[38:39]
	v_pk_fma_f32 v[108:109], v[44:45], s[10:11], v[108:109] op_sel_hi:[1,0,1]
	v_add3_u32 v30, 0, v1, v2
	v_pk_add_f32 v[112:113], v[88:89], v[106:107]
	v_pk_add_f32 v[114:115], v[108:109], v[110:111]
	ds_write2_b64 v30, v[112:113], v[114:115] offset1:9
	v_pk_add_f32 v[112:113], v[36:37], v[140:141]
	v_pk_add_f32 v[36:37], v[64:65], v[36:37] neg_lo:[0,1] neg_hi:[0,1]
	v_pk_add_f32 v[64:65], v[66:67], v[140:141] neg_lo:[0,1] neg_hi:[0,1]
	v_pk_fma_f32 v[92:93], v[112:113], 0.5, v[92:93] op_sel_hi:[1,0,1] neg_lo:[1,0,0] neg_hi:[1,0,0]
	v_pk_add_f32 v[36:37], v[36:37], v[64:65]
	v_pk_add_f32 v[64:65], v[62:63], v[38:39]
	v_pk_add_f32 v[62:63], v[68:69], v[62:63] neg_lo:[0,1] neg_hi:[0,1]
	v_pk_add_f32 v[38:39], v[144:145], v[38:39] neg_lo:[0,1] neg_hi:[0,1]
	v_pk_fma_f32 v[34:35], v[64:65], 0.5, v[34:35] op_sel_hi:[1,0,1] neg_lo:[1,0,0] neg_hi:[1,0,0]
	v_pk_add_f32 v[38:39], v[62:63], v[38:39]
	v_pk_mul_f32 v[62:63], v[90:91], s[12:13] op_sel_hi:[1,0]
	v_pk_mul_f32 v[52:53], v[52:53], s[16:17] op_sel_hi:[1,0]
	v_pk_add_f32 v[64:65], v[92:93], v[62:63] op_sel:[0,1] op_sel_hi:[1,0] neg_lo:[0,1] neg_hi:[0,1]
	v_pk_add_f32 v[62:63], v[92:93], v[62:63] op_sel:[0,1] op_sel_hi:[1,0]
	v_mov_b32_e32 v49, v95
	v_pk_add_f32 v[62:63], v[62:63], v[52:53] op_sel:[0,1] op_sel_hi:[1,0] neg_lo:[0,1] neg_hi:[0,1]
	v_pk_add_f32 v[52:53], v[64:65], v[52:53] op_sel:[0,1] op_sel_hi:[1,0]
	v_pk_mul_f32 v[64:65], v[102:103], s[12:13] op_sel_hi:[1,0]
	v_mov_b32_e32 v99, v105
	v_pk_add_f32 v[66:67], v[34:35], v[64:65] op_sel:[0,1] op_sel_hi:[1,0] neg_lo:[0,1] neg_hi:[0,1]
	v_pk_add_f32 v[34:35], v[34:35], v[64:65] op_sel:[0,1] op_sel_hi:[1,0]
	v_pk_mul_f32 v[64:65], v[100:101], s[16:17] op_sel_hi:[1,0]
	v_mov_b32_e32 v43, v61
	v_pk_add_f32 v[34:35], v[34:35], v[64:65] op_sel:[0,1] op_sel_hi:[1,0] neg_lo:[0,1] neg_hi:[0,1]
	v_pk_add_f32 v[64:65], v[66:67], v[64:65] op_sel:[0,1] op_sel_hi:[1,0]
	v_mov_b32_e32 v67, v35
	v_mov_b32_e32 v66, v64
	v_pk_fma_f32 v[66:67], v[38:39], s[10:11], v[66:67] op_sel_hi:[1,0,1]
	v_mov_b32_e32 v35, v65
	v_pk_mul_f32 v[68:69], v[66:67], s[12:13] op_sel_hi:[1,0]
	v_pk_fma_f32 v[34:35], v[38:39], s[10:11], v[34:35] op_sel_hi:[1,0,1]
	v_pk_fma_f32 v[90:91], v[66:67], s[10:11], v[68:69] op_sel:[0,0,1] op_sel_hi:[1,0,0]
	v_pk_fma_f32 v[66:67], v[66:67], s[10:11], v[68:69] op_sel:[0,0,1] op_sel_hi:[1,0,0] neg_lo:[0,0,1] neg_hi:[0,0,1]
	v_pk_mul_f32 v[38:39], v[34:35], s[10:11] op_sel_hi:[1,0]
	v_mov_b32_e32 v91, v67
	v_mov_b32_e32 v66, v52
	v_mov_b32_e32 v67, v63
	v_mov_b32_e32 v63, v53
	v_pk_fma_f32 v[52:53], v[36:37], s[10:11], v[66:67] op_sel_hi:[1,0,1]
	v_pk_fma_f32 v[36:37], v[36:37], s[10:11], v[62:63] op_sel_hi:[1,0,1]
	v_pk_fma_f32 v[34:35], v[34:35], s[18:19], v[38:39] op_sel:[0,0,1] op_sel_hi:[1,1,0] neg_lo:[0,0,1] neg_hi:[0,0,1]
	v_pk_add_f32 v[38:39], v[52:53], v[90:91]
	v_pk_add_f32 v[62:63], v[36:37], v[34:35] op_sel:[0,1] op_sel_hi:[1,0]
	ds_write2_b64 v30, v[38:39], v[62:63] offset0:18 offset1:27
	v_pk_fma_f32 v[38:39], v[44:45], s[10:11], v[48:49] op_sel_hi:[1,0,1]
	v_pk_fma_f32 v[44:45], v[96:97], s[10:11], v[98:99] op_sel_hi:[1,0,1]
	v_mov_b32_e32 v1, v3
	v_pk_mul_f32 v[48:49], v[44:45], s[14:15] op_sel_hi:[1,0]
	v_pk_add_f32 v[2:3], v[36:37], v[34:35] op_sel:[0,1] op_sel_hi:[1,0] neg_lo:[0,1] neg_hi:[0,1]
	v_pk_fma_f32 v[44:45], v[44:45], s[20:21], v[48:49] op_sel:[0,0,1] op_sel_hi:[1,1,0] neg_lo:[0,0,1] neg_hi:[0,0,1]
	v_pk_add_f32 v[48:49], v[88:89], v[106:107] neg_lo:[0,1] neg_hi:[0,1]
	v_pk_add_f32 v[62:63], v[38:39], v[44:45] op_sel:[0,1] op_sel_hi:[1,0]
	v_pk_add_f32 v[6:7], v[38:39], v[44:45] op_sel:[0,1] op_sel_hi:[1,0] neg_lo:[0,1] neg_hi:[0,1]
	ds_write2_b64 v30, v[62:63], v[48:49] offset0:36 offset1:45
	v_pk_add_f32 v[48:49], v[108:109], v[110:111] neg_lo:[0,1] neg_hi:[0,1]
	v_pk_add_f32 v[52:53], v[52:53], v[90:91] neg_lo:[0,1] neg_hi:[0,1]
	ds_write2_b64 v30, v[2:3], v[6:7] offset0:72 offset1:81
	v_pk_add_f32 v[2:3], v[10:11], v[14:15]
	v_pk_add_f32 v[6:7], v[4:5], v[42:43] neg_lo:[0,1] neg_hi:[0,1]
	ds_write2_b64 v30, v[48:49], v[52:53] offset0:54 offset1:63
	v_pk_fma_f32 v[2:3], v[2:3], 0.5, v[32:33] op_sel_hi:[1,0,1] neg_lo:[1,0,0] neg_hi:[1,0,0]
	v_pk_mul_f32 v[30:31], v[6:7], s[12:13] op_sel_hi:[1,0]
	v_pk_add_f32 v[34:35], v[4:5], v[10:11] neg_lo:[0,1] neg_hi:[0,1]
	v_pk_add_f32 v[36:37], v[42:43], v[14:15] neg_lo:[0,1] neg_hi:[0,1]
	v_mov_b32_e32 v41, v59
	v_pk_add_f32 v[34:35], v[34:35], v[36:37]
	v_pk_add_f32 v[36:37], v[2:3], v[30:31] op_sel:[0,1] op_sel_hi:[1,0]
	v_pk_add_f32 v[2:3], v[2:3], v[30:31] op_sel:[0,1] op_sel_hi:[1,0] neg_lo:[0,1] neg_hi:[0,1]
	v_pk_add_f32 v[30:31], v[10:11], v[14:15] neg_lo:[0,1] neg_hi:[0,1]
	v_pk_add_f32 v[44:45], v[0:1], v[40:41] neg_lo:[0,1] neg_hi:[0,1]
	v_pk_mul_f32 v[38:39], v[30:31], s[16:17] op_sel_hi:[1,0]
	v_pk_add_f32 v[46:47], v[8:9], v[0:1] neg_lo:[0,1] neg_hi:[0,1]
	v_pk_add_f32 v[2:3], v[2:3], v[38:39] op_sel:[0,1] op_sel_hi:[1,0] neg_lo:[0,1] neg_hi:[0,1]
	v_pk_add_f32 v[36:37], v[36:37], v[38:39] op_sel:[0,1] op_sel_hi:[1,0]
	v_pk_add_f32 v[38:39], v[8:9], v[12:13] neg_lo:[0,1] neg_hi:[0,1]
	v_pk_mul_f32 v[48:49], v[46:47], s[12:13] op_sel_hi:[1,0]
	v_pk_add_f32 v[38:39], v[38:39], v[44:45]
	v_pk_add_f32 v[44:45], v[12:13], v[40:41]
	v_mov_b32_e32 v58, v36
	v_pk_fma_f32 v[44:45], v[44:45], 0.5, v[28:29] op_sel_hi:[1,0,1] neg_lo:[1,0,0] neg_hi:[1,0,0]
	v_mov_b32_e32 v59, v3
	v_pk_add_f32 v[50:51], v[44:45], v[48:49] op_sel:[0,1] op_sel_hi:[1,0]
	v_pk_add_f32 v[44:45], v[44:45], v[48:49] op_sel:[0,1] op_sel_hi:[1,0] neg_lo:[0,1] neg_hi:[0,1]
	v_pk_add_f32 v[48:49], v[12:13], v[40:41] neg_lo:[0,1] neg_hi:[0,1]
	v_pk_fma_f32 v[58:59], v[34:35], s[10:11], v[58:59] op_sel_hi:[1,0,1]
	v_pk_mul_f32 v[52:53], v[48:49], s[16:17] op_sel_hi:[1,0]
	v_pk_mul_f32 v[6:7], v[6:7], s[16:17] op_sel_hi:[1,0]
	v_pk_add_f32 v[44:45], v[44:45], v[52:53] op_sel:[0,1] op_sel_hi:[1,0] neg_lo:[0,1] neg_hi:[0,1]
	v_pk_add_f32 v[50:51], v[50:51], v[52:53] op_sel:[0,1] op_sel_hi:[1,0]
	v_mov_b32_e32 v53, v45
	v_mov_b32_e32 v52, v50
	v_pk_fma_f32 v[52:53], v[38:39], s[10:11], v[52:53] op_sel_hi:[1,0,1]
	v_mul_u32_u24_e32 v45, 0x2d0, v86
	v_pk_mul_f32 v[54:55], v[52:53], s[16:17] op_sel_hi:[1,0]
	v_lshlrev_b32_e32 v50, 3, v87
	v_pk_fma_f32 v[56:57], v[52:53], s[14:15], v[54:55] op_sel:[0,0,1] op_sel_hi:[1,0,0]
	v_pk_fma_f32 v[52:53], v[52:53], s[14:15], v[54:55] op_sel:[0,0,1] op_sel_hi:[1,0,0] neg_lo:[0,0,1] neg_hi:[0,0,1]
	v_pk_add_f32 v[54:55], v[28:29], v[8:9]
	v_mov_b32_e32 v57, v53
	v_pk_add_f32 v[52:53], v[32:33], v[4:5]
	v_pk_add_f32 v[54:55], v[54:55], v[12:13]
	;; [unrolled: 1-line block ×7, first 2 shown]
	v_add3_u32 v50, 0, v45, v50
	v_pk_add_f32 v[60:61], v[52:53], v[54:55]
	v_pk_add_f32 v[62:63], v[58:59], v[56:57]
	ds_write2_b64 v50, v[60:61], v[62:63] offset1:9
	v_pk_add_f32 v[60:61], v[4:5], v[42:43]
	v_pk_add_f32 v[4:5], v[10:11], v[4:5] neg_lo:[0,1] neg_hi:[0,1]
	v_pk_add_f32 v[10:11], v[14:15], v[42:43] neg_lo:[0,1] neg_hi:[0,1]
	v_pk_fma_f32 v[32:33], v[60:61], 0.5, v[32:33] op_sel_hi:[1,0,1] neg_lo:[1,0,0] neg_hi:[1,0,0]
	v_pk_add_f32 v[4:5], v[4:5], v[10:11]
	v_pk_add_f32 v[10:11], v[8:9], v[0:1]
	v_pk_add_f32 v[8:9], v[12:13], v[8:9] neg_lo:[0,1] neg_hi:[0,1]
	v_pk_add_f32 v[0:1], v[40:41], v[0:1] neg_lo:[0,1] neg_hi:[0,1]
	v_pk_fma_f32 v[10:11], v[10:11], 0.5, v[28:29] op_sel_hi:[1,0,1] neg_lo:[1,0,0] neg_hi:[1,0,0]
	v_pk_add_f32 v[0:1], v[8:9], v[0:1]
	v_pk_mul_f32 v[8:9], v[30:31], s[12:13] op_sel_hi:[1,0]
	v_mov_b32_e32 v45, v51
	v_pk_add_f32 v[12:13], v[32:33], v[8:9] op_sel:[0,1] op_sel_hi:[1,0] neg_lo:[0,1] neg_hi:[0,1]
	v_pk_add_f32 v[8:9], v[32:33], v[8:9] op_sel:[0,1] op_sel_hi:[1,0]
	v_mov_b32_e32 v3, v37
	v_pk_add_f32 v[8:9], v[8:9], v[6:7] op_sel:[0,1] op_sel_hi:[1,0] neg_lo:[0,1] neg_hi:[0,1]
	v_pk_add_f32 v[6:7], v[12:13], v[6:7] op_sel:[0,1] op_sel_hi:[1,0]
	v_pk_mul_f32 v[12:13], v[48:49], s[12:13] op_sel_hi:[1,0]
	v_pk_fma_f32 v[2:3], v[34:35], s[10:11], v[2:3] op_sel_hi:[1,0,1]
	v_pk_add_f32 v[14:15], v[10:11], v[12:13] op_sel:[0,1] op_sel_hi:[1,0] neg_lo:[0,1] neg_hi:[0,1]
	v_pk_add_f32 v[10:11], v[10:11], v[12:13] op_sel:[0,1] op_sel_hi:[1,0]
	v_pk_mul_f32 v[12:13], v[46:47], s[16:17] op_sel_hi:[1,0]
	s_nop 0
	v_pk_add_f32 v[10:11], v[10:11], v[12:13] op_sel:[0,1] op_sel_hi:[1,0] neg_lo:[0,1] neg_hi:[0,1]
	v_pk_add_f32 v[12:13], v[14:15], v[12:13] op_sel:[0,1] op_sel_hi:[1,0]
	v_mov_b32_e32 v15, v11
	v_mov_b32_e32 v14, v12
	v_pk_fma_f32 v[14:15], v[0:1], s[10:11], v[14:15] op_sel_hi:[1,0,1]
	v_mov_b32_e32 v11, v13
	v_pk_mul_f32 v[28:29], v[14:15], s[12:13] op_sel_hi:[1,0]
	v_pk_fma_f32 v[0:1], v[0:1], s[10:11], v[10:11] op_sel_hi:[1,0,1]
	v_pk_fma_f32 v[30:31], v[14:15], s[10:11], v[28:29] op_sel:[0,0,1] op_sel_hi:[1,0,0]
	v_pk_fma_f32 v[14:15], v[14:15], s[10:11], v[28:29] op_sel:[0,0,1] op_sel_hi:[1,0,0] neg_lo:[0,0,1] neg_hi:[0,0,1]
	v_pk_mul_f32 v[10:11], v[0:1], s[10:11] op_sel_hi:[1,0]
	v_mov_b32_e32 v31, v15
	v_mov_b32_e32 v14, v6
	;; [unrolled: 1-line block ×4, first 2 shown]
	v_pk_fma_f32 v[6:7], v[4:5], s[10:11], v[14:15] op_sel_hi:[1,0,1]
	v_pk_fma_f32 v[4:5], v[4:5], s[10:11], v[8:9] op_sel_hi:[1,0,1]
	v_pk_fma_f32 v[0:1], v[0:1], s[18:19], v[10:11] op_sel:[0,0,1] op_sel_hi:[1,1,0] neg_lo:[0,0,1] neg_hi:[0,0,1]
	v_pk_add_f32 v[8:9], v[6:7], v[30:31]
	v_pk_add_f32 v[10:11], v[4:5], v[0:1] op_sel:[0,1] op_sel_hi:[1,0]
	ds_write2_b64 v50, v[8:9], v[10:11] offset0:18 offset1:27
	v_pk_fma_f32 v[8:9], v[38:39], s[10:11], v[44:45] op_sel_hi:[1,0,1]
	v_pk_add_f32 v[0:1], v[4:5], v[0:1] op_sel:[0,1] op_sel_hi:[1,0] neg_lo:[0,1] neg_hi:[0,1]
	v_pk_mul_f32 v[10:11], v[8:9], s[14:15] op_sel_hi:[1,0]
	s_movk_i32 s10, 0x2d83
	v_pk_fma_f32 v[8:9], v[8:9], s[20:21], v[10:11] op_sel:[0,0,1] op_sel_hi:[1,1,0] neg_lo:[0,0,1] neg_hi:[0,0,1]
	v_pk_add_f32 v[12:13], v[52:53], v[54:55] neg_lo:[0,1] neg_hi:[0,1]
	v_pk_add_f32 v[10:11], v[2:3], v[8:9] op_sel:[0,1] op_sel_hi:[1,0]
	v_pk_add_f32 v[2:3], v[2:3], v[8:9] op_sel:[0,1] op_sel_hi:[1,0] neg_lo:[0,1] neg_hi:[0,1]
	ds_write2_b64 v50, v[0:1], v[2:3] offset0:72 offset1:81
	v_mul_u32_u24_sdwa v2, v26, s10 dst_sel:DWORD dst_unused:UNUSED_PAD src0_sel:WORD_0 src1_sel:DWORD
	v_mul_u32_u24_sdwa v1, v24, s10 dst_sel:DWORD dst_unused:UNUSED_PAD src0_sel:WORD_0 src1_sel:DWORD
	v_lshrrev_b32_e32 v47, 20, v2
	ds_write2_b64 v50, v[10:11], v[12:13] offset0:36 offset1:45
	v_pk_add_f32 v[10:11], v[58:59], v[56:57] neg_lo:[0,1] neg_hi:[0,1]
	v_pk_add_f32 v[6:7], v[6:7], v[30:31] neg_lo:[0,1] neg_hi:[0,1]
	v_mul_u32_u24_sdwa v0, v22, s10 dst_sel:DWORD dst_unused:UNUSED_PAD src0_sel:WORD_0 src1_sel:DWORD
	v_lshrrev_b32_e32 v46, 20, v1
	v_mul_lo_u16_e32 v2, 0x5a, v47
	ds_write2_b64 v50, v[10:11], v[6:7] offset0:54 offset1:63
	v_lshrrev_b32_e32 v50, 20, v0
	v_mul_lo_u16_e32 v1, 0x5a, v46
	v_sub_u16_e32 v48, v26, v2
	v_mul_lo_u16_e32 v0, 0x5a, v50
	v_mul_u32_u24_e32 v2, 5, v48
	v_sub_u16_e32 v49, v24, v1
	v_lshlrev_b32_e32 v98, 3, v2
	v_mul_u32_u24_e32 v1, 5, v49
	v_sub_u16_e32 v51, v22, v0
	s_waitcnt lgkmcnt(0)
	s_barrier
	global_load_dwordx2 v[2:3], v98, s[8:9] offset:728
	v_lshlrev_b32_e32 v12, 3, v1
	v_mul_u32_u24_e32 v0, 5, v51
	s_movk_i32 s10, 0xb7
	global_load_dwordx2 v[6:7], v12, s[8:9] offset:728
	v_lshlrev_b32_e32 v42, 3, v0
	global_load_dwordx2 v[14:15], v42, s[8:9] offset:728
	v_mul_lo_u16_sdwa v0, v85, s10 dst_sel:DWORD dst_unused:UNUSED_PAD src0_sel:BYTE_0 src1_sel:DWORD
	v_lshrrev_b16_e32 v142, 14, v0
	v_mul_lo_u16_e32 v0, 0x5a, v142
	v_sub_u16_e32 v85, v85, v0
	v_mov_b32_e32 v0, 5
	v_mul_u32_u24_sdwa v0, v85, v0 dst_sel:DWORD dst_unused:UNUSED_PAD src0_sel:BYTE_0 src1_sel:DWORD
	v_lshlrev_b32_e32 v4, 3, v0
	global_load_dwordx2 v[28:29], v4, s[8:9] offset:728
	global_load_dwordx4 v[30:33], v98, s[8:9] offset:696
	global_load_dwordx4 v[34:37], v12, s[8:9] offset:696
	;; [unrolled: 1-line block ×4, first 2 shown]
	s_movk_i32 s10, 0x5a
	v_add_u32_e32 v0, 0xffffffa6, v18
	v_cmp_gt_u32_e32 vcc, s10, v18
	v_mov_b32_e32 v1, v23
	s_movk_i32 s10, 0x59
	v_cndmask_b32_e32 v143, v0, v18, vcc
	v_mul_i32_i24_e32 v0, 5, v143
	v_lshl_add_u64 v[68:69], v[0:1], 3, s[8:9]
	global_load_dwordx4 v[60:63], v[68:69], off offset:696
	global_load_dwordx4 v[64:67], v[68:69], off offset:712
	global_load_dwordx4 v[86:89], v4, s[8:9] offset:712
	global_load_dwordx4 v[90:93], v12, s[8:9] offset:712
	;; [unrolled: 1-line block ×3, first 2 shown]
	ds_read2_b64 v[8:11], v80 offset0:80 offset1:188
	ds_read2_b64 v[38:41], v78 offset0:120 offset1:228
	global_load_dwordx4 v[98:101], v98, s[8:9] offset:712
	ds_read_b64 v[44:45], v70 offset:12096
	v_cmp_lt_u32_e32 vcc, s10, v18
	s_waitcnt vmcnt(13) lgkmcnt(2)
	v_pk_mul_f32 v[4:5], v[10:11], v[2:3] op_sel:[0,1]
	s_nop 0
	v_pk_fma_f32 v[0:1], v[10:11], v[2:3], v[4:5] op_sel:[0,0,1] op_sel_hi:[1,1,0] neg_lo:[0,0,1] neg_hi:[0,0,1]
	v_pk_fma_f32 v[4:5], v[10:11], v[2:3], v[4:5] op_sel:[0,0,1] op_sel_hi:[1,0,0]
	v_mov_b32_e32 v1, 0x10e0
	s_waitcnt vmcnt(12)
	v_pk_mul_f32 v[10:11], v[8:9], v[6:7] op_sel:[0,1]
	v_cndmask_b32_e32 v1, 0, v1, vcc
	v_pk_fma_f32 v[2:3], v[8:9], v[6:7], v[10:11] op_sel:[0,0,1] op_sel_hi:[1,1,0] neg_lo:[0,0,1] neg_hi:[0,0,1]
	v_pk_fma_f32 v[6:7], v[8:9], v[6:7], v[10:11] op_sel:[0,0,1] op_sel_hi:[1,0,0]
	s_waitcnt vmcnt(11) lgkmcnt(1)
	v_pk_mul_f32 v[8:9], v[40:41], v[14:15] op_sel:[0,1]
	v_lshlrev_b32_e32 v3, 3, v143
	v_pk_fma_f32 v[12:13], v[40:41], v[14:15], v[8:9] op_sel:[0,0,1] op_sel_hi:[1,1,0] neg_lo:[0,0,1] neg_hi:[0,0,1]
	v_pk_fma_f32 v[14:15], v[40:41], v[14:15], v[8:9] op_sel:[0,0,1] op_sel_hi:[1,0,0]
	s_waitcnt vmcnt(10)
	v_pk_mul_f32 v[8:9], v[38:39], v[28:29] op_sel:[0,1]
	ds_read2_b64 v[40:43], v83 offset0:96 offset1:204
	v_pk_fma_f32 v[106:107], v[38:39], v[28:29], v[8:9] op_sel:[0,0,1] op_sel_hi:[1,1,0] neg_lo:[0,0,1] neg_hi:[0,0,1]
	v_pk_fma_f32 v[108:109], v[38:39], v[28:29], v[8:9] op_sel:[0,0,1] op_sel_hi:[1,0,0]
	ds_read_b64 v[110:111], v72
	ds_read_b64 v[28:29], v71
	global_load_dwordx2 v[68:69], v[68:69], off offset:728
	ds_read2_b64 v[102:105], v77 offset0:16 offset1:124
	s_waitcnt vmcnt(10)
	v_mov_b32_e32 v4, v33
	s_waitcnt lgkmcnt(4)
	v_pk_mul_f32 v[8:9], v[44:45], v[4:5] op_sel_hi:[1,0]
	s_waitcnt vmcnt(9)
	v_mov_b32_e32 v4, v37
	v_pk_fma_f32 v[10:11], v[44:45], v[32:33], v[8:9] op_sel:[0,0,1] op_sel_hi:[1,1,0] neg_lo:[0,0,1] neg_hi:[0,0,1]
	v_pk_fma_f32 v[38:39], v[44:45], v[32:33], v[8:9] op_sel:[0,0,1] op_sel_hi:[1,0,0]
	s_waitcnt lgkmcnt(3)
	v_pk_mul_f32 v[32:33], v[42:43], v[30:31] op_sel:[0,1]
	v_add_u32_e32 v38, 0x3000, v70
	v_pk_fma_f32 v[8:9], v[42:43], v[30:31], v[32:33] op_sel:[0,0,1] op_sel_hi:[1,1,0] neg_lo:[0,0,1] neg_hi:[0,0,1]
	v_pk_fma_f32 v[42:43], v[42:43], v[30:31], v[32:33] op_sel:[0,0,1] op_sel_hi:[1,0,0]
	v_pk_mul_f32 v[32:33], v[40:41], v[34:35] op_sel:[0,1]
	v_add3_u32 v1, 0, v1, v3
	v_pk_fma_f32 v[30:31], v[40:41], v[34:35], v[32:33] op_sel:[0,0,1] op_sel_hi:[1,1,0] neg_lo:[0,0,1] neg_hi:[0,0,1]
	v_pk_fma_f32 v[40:41], v[40:41], v[34:35], v[32:33] op_sel:[0,0,1] op_sel_hi:[1,0,0]
	s_waitcnt lgkmcnt(0)
	v_pk_mul_f32 v[34:35], v[104:105], v[4:5] op_sel_hi:[1,0]
	s_waitcnt vmcnt(8)
	v_mov_b32_e32 v4, v55
	v_pk_fma_f32 v[32:33], v[104:105], v[36:37], v[34:35] op_sel:[0,0,1] op_sel_hi:[1,1,0] neg_lo:[0,0,1] neg_hi:[0,0,1]
	v_pk_fma_f32 v[44:45], v[104:105], v[36:37], v[34:35] op_sel:[0,0,1] op_sel_hi:[1,0,0]
	ds_read2_b64 v[34:37], v76 offset0:136 offset1:244
	v_pk_mul_f32 v[104:105], v[102:103], v[4:5] op_sel_hi:[1,0]
	s_waitcnt vmcnt(7)
	v_mov_b32_e32 v4, v59
	v_pk_fma_f32 v[112:113], v[102:103], v[54:55], v[104:105] op_sel:[0,0,1] op_sel_hi:[1,1,0] neg_lo:[0,0,1] neg_hi:[0,0,1]
	v_pk_fma_f32 v[102:103], v[102:103], v[54:55], v[104:105] op_sel:[0,0,1] op_sel_hi:[1,0,0]
	s_waitcnt lgkmcnt(0)
	v_pk_mul_f32 v[54:55], v[36:37], v[52:53] op_sel:[0,1]
	v_add_u32_e32 v3, 0x400, v1
	v_pk_fma_f32 v[104:105], v[36:37], v[52:53], v[54:55] op_sel:[0,0,1] op_sel_hi:[1,1,0] neg_lo:[0,0,1] neg_hi:[0,0,1]
	v_pk_fma_f32 v[114:115], v[36:37], v[52:53], v[54:55] op_sel:[0,0,1] op_sel_hi:[1,0,0]
	ds_read2_b64 v[52:55], v74 offset0:56 offset1:164
	v_pk_mul_f32 v[36:37], v[34:35], v[56:57] op_sel:[0,1]
	v_mov_b32_e32 v107, v109
	v_pk_fma_f32 v[116:117], v[34:35], v[56:57], v[36:37] op_sel:[0,0,1] op_sel_hi:[1,1,0] neg_lo:[0,0,1] neg_hi:[0,0,1]
	v_pk_fma_f32 v[56:57], v[34:35], v[56:57], v[36:37] op_sel:[0,0,1] op_sel_hi:[1,0,0]
	ds_read_b64 v[36:37], v25
	s_waitcnt lgkmcnt(1)
	v_pk_mul_f32 v[34:35], v[54:55], v[4:5] op_sel_hi:[1,0]
	v_mov_b32_e32 v117, v57
	v_pk_fma_f32 v[118:119], v[54:55], v[58:59], v[34:35] op_sel:[0,0,1] op_sel_hi:[1,1,0] neg_lo:[0,0,1] neg_hi:[0,0,1]
	v_pk_fma_f32 v[58:59], v[54:55], v[58:59], v[34:35] op_sel:[0,0,1] op_sel_hi:[1,0,0]
	s_waitcnt vmcnt(6)
	v_pk_mul_f32 v[34:35], v[62:63], v[52:53] op_sel:[0,1]
	v_mov_b32_e32 v119, v59
	v_pk_fma_f32 v[120:121], v[62:63], v[52:53], v[34:35] op_sel:[0,0,1] op_sel_hi:[1,1,0] neg_lo:[0,0,1] neg_hi:[0,0,1]
	v_pk_fma_f32 v[62:63], v[62:63], v[52:53], v[34:35] op_sel:[0,0,1] op_sel_hi:[1,0,0]
	s_waitcnt lgkmcnt(0)
	v_pk_mul_f32 v[34:35], v[60:61], v[36:37] op_sel:[0,1]
	v_mov_b32_e32 v121, v63
	v_pk_fma_f32 v[122:123], v[60:61], v[36:37], v[34:35] op_sel:[0,0,1] op_sel_hi:[1,1,0] neg_lo:[0,0,1] neg_hi:[0,0,1]
	v_pk_fma_f32 v[60:61], v[60:61], v[36:37], v[34:35] op_sel:[0,0,1] op_sel_hi:[1,0,0]
	ds_read2_b32 v[34:35], v38 offset0:168 offset1:169
	v_mov_b32_e32 v123, v61
	v_mov_b32_e32 v113, v103
	;; [unrolled: 1-line block ×4, first 2 shown]
	s_waitcnt lgkmcnt(0)
	v_mov_b32_e32 v4, v35
	s_waitcnt vmcnt(5)
	v_pk_mul_f32 v[36:37], v[4:5], v[64:65] op_sel_hi:[0,1]
	v_pk_fma_f32 v[124:125], v[64:65], v[34:35], v[36:37] op_sel:[0,0,1] op_sel_hi:[1,1,0] neg_lo:[0,0,1] neg_hi:[0,0,1]
	v_pk_fma_f32 v[64:65], v[64:65], v[34:35], v[36:37] op_sel:[0,0,1] op_sel_hi:[1,0,0]
	ds_read2_b64 v[34:37], v73 offset0:112 offset1:220
	v_mov_b32_e32 v4, v67
	v_mov_b32_e32 v125, v65
	;; [unrolled: 1-line block ×4, first 2 shown]
	s_waitcnt lgkmcnt(0)
	v_pk_mul_f32 v[52:53], v[34:35], v[4:5] op_sel_hi:[1,0]
	s_waitcnt vmcnt(4)
	v_mov_b32_e32 v4, v89
	v_pk_fma_f32 v[126:127], v[34:35], v[66:67], v[52:53] op_sel:[0,0,1] op_sel_hi:[1,1,0] neg_lo:[0,0,1] neg_hi:[0,0,1]
	v_pk_fma_f32 v[66:67], v[34:35], v[66:67], v[52:53] op_sel:[0,0,1] op_sel_hi:[1,0,0]
	v_pk_mul_f32 v[34:35], v[36:37], v[4:5] op_sel_hi:[1,0]
	s_waitcnt vmcnt(2)
	v_mov_b32_e32 v4, v97
	v_pk_fma_f32 v[128:129], v[36:37], v[88:89], v[34:35] op_sel:[0,0,1] op_sel_hi:[1,1,0] neg_lo:[0,0,1] neg_hi:[0,0,1]
	v_pk_fma_f32 v[88:89], v[36:37], v[88:89], v[34:35] op_sel:[0,0,1] op_sel_hi:[1,0,0]
	ds_read2_b64 v[34:37], v81 offset0:64 offset1:172
	v_mov_b32_e32 v127, v67
	v_pk_add_f32 v[62:63], v[120:121], v[126:127]
	v_pk_add_f32 v[64:65], v[120:121], v[126:127] neg_lo:[0,1] neg_hi:[0,1]
	v_pk_add_f32 v[66:67], v[122:123], v[124:125]
	s_waitcnt lgkmcnt(0)
	v_pk_mul_f32 v[52:53], v[34:35], v[86:87] op_sel:[0,1]
	v_mov_b32_e32 v129, v89
	v_pk_fma_f32 v[130:131], v[34:35], v[86:87], v[52:53] op_sel:[0,0,1] op_sel_hi:[1,1,0] neg_lo:[0,0,1] neg_hi:[0,0,1]
	v_pk_fma_f32 v[86:87], v[34:35], v[86:87], v[52:53] op_sel:[0,0,1] op_sel_hi:[1,0,0]
	v_pk_mul_f32 v[34:35], v[36:37], v[94:95] op_sel:[0,1]
	v_pk_add_f32 v[56:57], v[118:119], v[128:129] neg_lo:[0,1] neg_hi:[0,1]
	v_pk_fma_f32 v[132:133], v[36:37], v[94:95], v[34:35] op_sel:[0,0,1] op_sel_hi:[1,1,0] neg_lo:[0,0,1] neg_hi:[0,0,1]
	v_pk_fma_f32 v[94:95], v[36:37], v[94:95], v[34:35] op_sel:[0,0,1] op_sel_hi:[1,0,0]
	ds_read2_b64 v[34:37], v27 offset0:72 offset1:180
	v_mov_b32_e32 v131, v87
	v_pk_mul_f32 v[56:57], v[56:57], s[4:5] op_sel_hi:[1,0]
	v_mov_b32_e32 v133, v95
	v_mov_b32_e32 v31, v41
	s_waitcnt lgkmcnt(0)
	v_pk_mul_f32 v[52:53], v[34:35], v[4:5] op_sel_hi:[1,0]
	v_mov_b32_e32 v4, v93
	v_pk_fma_f32 v[134:135], v[34:35], v[96:97], v[52:53] op_sel:[0,0,1] op_sel_hi:[1,1,0] neg_lo:[0,0,1] neg_hi:[0,0,1]
	v_pk_fma_f32 v[96:97], v[34:35], v[96:97], v[52:53] op_sel:[0,0,1] op_sel_hi:[1,0,0]
	v_pk_mul_f32 v[34:35], v[36:37], v[4:5] op_sel_hi:[1,0]
	s_waitcnt vmcnt(1)
	v_mov_b32_e32 v4, v101
	v_pk_fma_f32 v[136:137], v[36:37], v[92:93], v[34:35] op_sel:[0,0,1] op_sel_hi:[1,1,0] neg_lo:[0,0,1] neg_hi:[0,0,1]
	v_pk_fma_f32 v[92:93], v[36:37], v[92:93], v[34:35] op_sel:[0,0,1] op_sel_hi:[1,0,0]
	ds_read2_b64 v[34:37], v82 offset0:24 offset1:132
	v_mov_b32_e32 v135, v97
	v_pk_add_f32 v[14:15], v[112:113], v[134:135]
	v_mov_b32_e32 v137, v93
	v_pk_fma_f32 v[14:15], v[14:15], 0.5, v[110:111] op_sel_hi:[1,0,1] neg_lo:[1,0,0] neg_hi:[1,0,0]
	s_waitcnt lgkmcnt(0)
	v_pk_mul_f32 v[52:53], v[34:35], v[90:91] op_sel:[0,1]
	v_mov_b32_e32 v9, v43
	v_pk_fma_f32 v[138:139], v[34:35], v[90:91], v[52:53] op_sel:[0,0,1] op_sel_hi:[1,1,0] neg_lo:[0,0,1] neg_hi:[0,0,1]
	v_pk_fma_f32 v[90:91], v[34:35], v[90:91], v[52:53] op_sel:[0,0,1] op_sel_hi:[1,0,0]
	v_pk_mul_f32 v[52:53], v[36:37], v[98:99] op_sel:[0,1]
	v_mov_b32_e32 v139, v91
	v_pk_fma_f32 v[34:35], v[36:37], v[98:99], v[52:53] op_sel:[0,0,1] op_sel_hi:[1,1,0] neg_lo:[0,0,1] neg_hi:[0,0,1]
	v_pk_fma_f32 v[98:99], v[36:37], v[98:99], v[52:53] op_sel:[0,0,1] op_sel_hi:[1,0,0]
	ds_read2_b64 v[52:55], v75 offset0:32 offset1:140
	v_mov_b32_e32 v35, v99
	v_pk_add_f32 v[42:43], v[8:9], v[34:35]
	s_waitcnt lgkmcnt(0)
	v_pk_mul_f32 v[140:141], v[52:53], v[4:5] op_sel_hi:[1,0]
	s_nop 0
	v_pk_fma_f32 v[36:37], v[52:53], v[100:101], v[140:141] op_sel:[0,0,1] op_sel_hi:[1,1,0] neg_lo:[0,0,1] neg_hi:[0,0,1]
	v_pk_fma_f32 v[100:101], v[52:53], v[100:101], v[140:141] op_sel:[0,0,1] op_sel_hi:[1,0,0]
	s_waitcnt vmcnt(0)
	v_pk_mul_f32 v[52:53], v[54:55], v[68:69] op_sel:[0,1]
	v_mov_b32_e32 v37, v101
	v_pk_fma_f32 v[140:141], v[54:55], v[68:69], v[52:53] op_sel:[0,0,1] op_sel_hi:[1,1,0] neg_lo:[0,0,1] neg_hi:[0,0,1]
	v_pk_fma_f32 v[52:53], v[54:55], v[68:69], v[52:53] op_sel:[0,0,1] op_sel_hi:[1,0,0]
	s_nop 0
	v_mov_b32_e32 v141, v53
	ds_read2_b64 v[52:55], v70 offset1:108
	v_pk_add_f32 v[68:69], v[124:125], v[140:141] neg_lo:[0,1] neg_hi:[0,1]
	v_pk_add_f32 v[66:67], v[66:67], v[140:141]
	s_waitcnt lgkmcnt(0)
	v_pk_add_f32 v[60:61], v[52:53], v[120:121]
	v_pk_fma_f32 v[52:53], v[62:63], 0.5, v[52:53] op_sel_hi:[1,0,1] neg_lo:[1,0,0] neg_hi:[1,0,0]
	v_pk_mul_f32 v[62:63], v[64:65], s[4:5] op_sel_hi:[1,0]
	v_pk_add_f32 v[60:61], v[60:61], v[126:127]
	v_pk_add_f32 v[64:65], v[62:63], v[52:53] op_sel:[1,0] op_sel_hi:[0,1]
	v_pk_add_f32 v[52:53], v[52:53], v[62:63] op_sel:[0,1] op_sel_hi:[1,0] neg_lo:[0,1] neg_hi:[0,1]
	v_pk_add_f32 v[62:63], v[124:125], v[140:141]
	v_mov_b32_e32 v124, v52
	v_pk_fma_f32 v[62:63], v[62:63], 0.5, v[122:123] op_sel_hi:[1,0,1] neg_lo:[1,0,0] neg_hi:[1,0,0]
	v_mov_b32_e32 v125, v65
	v_pk_fma_f32 v[120:121], v[68:69], s[4:5], v[62:63] op_sel:[0,0,1] op_sel_hi:[1,0,0]
	v_pk_fma_f32 v[62:63], v[68:69], s[4:5], v[62:63] op_sel:[0,0,1] op_sel_hi:[1,0,0] neg_lo:[1,0,0] neg_hi:[1,0,0]
	v_mov_b32_e32 v68, v120
	v_mov_b32_e32 v69, v63
	v_pk_mul_f32 v[122:123], v[68:69], 0.5 op_sel_hi:[1,0]
	v_pk_add_f32 v[140:141], v[60:61], v[66:67] neg_lo:[0,1] neg_hi:[0,1]
	v_pk_fma_f32 v[68:69], v[68:69], s[4:5], v[122:123] op_sel:[0,0,1] op_sel_hi:[1,1,0] neg_lo:[0,0,1] neg_hi:[0,0,1]
	ds_read_b64 v[122:123], v19
	v_pk_add_f32 v[126:127], v[124:125], v[68:69]
	s_waitcnt lgkmcnt(0)
	s_barrier
	ds_write2_b64 v3, v[126:127], v[140:141] offset0:52 offset1:142
	v_mul_f32_e32 v3, 0x3f5db3d7, v62
	v_mul_f32_e32 v4, 0xbf5db3d7, v121
	v_fmac_f32_e32 v3, 0.5, v121
	v_fmac_f32_e32 v4, 0.5, v62
	v_pk_add_f32 v[60:61], v[60:61], v[66:67]
	v_add_f32_e32 v62, v64, v3
	v_add_f32_e32 v63, v53, v4
	ds_write2_b64 v1, v[60:61], v[62:63] offset1:90
	v_sub_f32_e32 v52, v64, v3
	v_sub_f32_e32 v53, v53, v4
	v_pk_add_f32 v[60:61], v[124:125], v[68:69] neg_lo:[0,1] neg_hi:[0,1]
	v_add_u32_e32 v1, 0x800, v1
	ds_write2_b64 v1, v[52:53], v[60:61] offset0:104 offset1:194
	v_pk_add_f32 v[52:53], v[118:119], v[128:129]
	v_pk_add_f32 v[62:63], v[130:131], v[106:107] neg_lo:[0,1] neg_hi:[0,1]
	v_pk_fma_f32 v[52:53], v[52:53], 0.5, v[54:55] op_sel_hi:[1,0,1] neg_lo:[1,0,0] neg_hi:[1,0,0]
	v_pk_add_f32 v[54:55], v[54:55], v[118:119]
	v_pk_add_f32 v[58:59], v[56:57], v[52:53] op_sel:[1,0] op_sel_hi:[0,1]
	v_pk_add_f32 v[52:53], v[52:53], v[56:57] op_sel:[0,1] op_sel_hi:[1,0] neg_lo:[0,1] neg_hi:[0,1]
	v_pk_add_f32 v[56:57], v[130:131], v[106:107]
	v_pk_add_f32 v[60:61], v[116:117], v[130:131]
	v_pk_fma_f32 v[56:57], v[56:57], 0.5, v[116:117] op_sel_hi:[1,0,1] neg_lo:[1,0,0] neg_hi:[1,0,0]
	v_lshlrev_b32_sdwa v1, v84, v85 dst_sel:DWORD dst_unused:UNUSED_PAD src0_sel:DWORD src1_sel:BYTE_0
	v_pk_fma_f32 v[64:65], v[62:63], s[4:5], v[56:57] op_sel:[0,0,1] op_sel_hi:[1,0,0]
	v_pk_fma_f32 v[56:57], v[62:63], s[4:5], v[56:57] op_sel:[0,0,1] op_sel_hi:[1,0,0] neg_lo:[1,0,0] neg_hi:[1,0,0]
	v_mov_b32_e32 v62, v64
	v_mov_b32_e32 v63, v57
	v_pk_mul_f32 v[66:67], v[62:63], 0.5 op_sel_hi:[1,0]
	v_mul_u32_u24_e32 v3, 0x10e0, v142
	v_pk_add_f32 v[54:55], v[54:55], v[128:129]
	v_pk_add_f32 v[60:61], v[60:61], v[106:107]
	v_pk_fma_f32 v[62:63], v[62:63], s[4:5], v[66:67] op_sel:[0,0,1] op_sel_hi:[1,1,0] neg_lo:[0,0,1] neg_hi:[0,0,1]
	v_add3_u32 v1, 0, v3, v1
	v_mov_b32_e32 v66, v52
	v_mov_b32_e32 v67, v59
	v_add_u32_e32 v3, 0x400, v1
	v_pk_add_f32 v[68:69], v[66:67], v[62:63]
	v_pk_add_f32 v[84:85], v[54:55], v[60:61] neg_lo:[0,1] neg_hi:[0,1]
	ds_write2_b64 v3, v[68:69], v[84:85] offset0:52 offset1:142
	v_mul_f32_e32 v3, 0x3f5db3d7, v56
	v_mul_f32_e32 v4, 0xbf5db3d7, v65
	v_fmac_f32_e32 v3, 0.5, v65
	v_fmac_f32_e32 v4, 0.5, v56
	v_pk_add_f32 v[54:55], v[54:55], v[60:61]
	v_add_f32_e32 v56, v58, v3
	v_add_f32_e32 v57, v53, v4
	ds_write2_b64 v1, v[54:55], v[56:57] offset1:90
	v_sub_f32_e32 v52, v58, v3
	v_sub_f32_e32 v53, v53, v4
	v_pk_add_f32 v[54:55], v[66:67], v[62:63] neg_lo:[0,1] neg_hi:[0,1]
	v_add_u32_e32 v1, 0x800, v1
	ds_write2_b64 v1, v[52:53], v[54:55] offset0:104 offset1:194
	v_pk_add_f32 v[54:55], v[112:113], v[134:135] neg_lo:[0,1] neg_hi:[0,1]
	v_pk_add_f32 v[58:59], v[104:105], v[132:133]
	v_pk_mul_f32 v[54:55], v[54:55], s[4:5] op_sel_hi:[1,0]
	v_pk_add_f32 v[58:59], v[58:59], v[12:13]
	v_pk_add_f32 v[56:57], v[54:55], v[14:15] op_sel:[1,0] op_sel_hi:[0,1]
	v_pk_add_f32 v[14:15], v[14:15], v[54:55] op_sel:[0,1] op_sel_hi:[1,0] neg_lo:[0,1] neg_hi:[0,1]
	v_pk_add_f32 v[54:55], v[132:133], v[12:13]
	v_pk_add_f32 v[12:13], v[132:133], v[12:13] neg_lo:[0,1] neg_hi:[0,1]
	v_pk_fma_f32 v[54:55], v[54:55], 0.5, v[104:105] op_sel_hi:[1,0,1] neg_lo:[1,0,0] neg_hi:[1,0,0]
	v_pk_add_f32 v[52:53], v[110:111], v[112:113]
	v_pk_fma_f32 v[60:61], v[12:13], s[4:5], v[54:55] op_sel:[0,0,1] op_sel_hi:[1,0,0]
	v_pk_fma_f32 v[12:13], v[12:13], s[4:5], v[54:55] op_sel:[0,0,1] op_sel_hi:[1,0,0] neg_lo:[1,0,0] neg_hi:[1,0,0]
	v_mov_b32_e32 v54, v60
	v_mov_b32_e32 v55, v13
	v_pk_mul_f32 v[62:63], v[54:55], 0.5 op_sel_hi:[1,0]
	v_mul_u32_u24_e32 v1, 0x10e0, v50
	v_lshlrev_b32_e32 v3, 3, v51
	v_pk_add_f32 v[52:53], v[52:53], v[134:135]
	v_pk_fma_f32 v[54:55], v[54:55], s[4:5], v[62:63] op_sel:[0,0,1] op_sel_hi:[1,1,0] neg_lo:[0,0,1] neg_hi:[0,0,1]
	v_add3_u32 v40, 0, v1, v3
	v_mov_b32_e32 v50, v14
	v_mov_b32_e32 v51, v57
	v_add_u32_e32 v1, 0x400, v40
	v_pk_add_f32 v[62:63], v[50:51], v[54:55]
	v_pk_add_f32 v[64:65], v[52:53], v[58:59] neg_lo:[0,1] neg_hi:[0,1]
	ds_write2_b64 v1, v[62:63], v[64:65] offset0:52 offset1:142
	v_mul_f32_e32 v1, 0x3f5db3d7, v12
	v_mul_f32_e32 v3, 0xbf5db3d7, v61
	v_fmac_f32_e32 v1, 0.5, v61
	v_fmac_f32_e32 v3, 0.5, v12
	v_pk_add_f32 v[52:53], v[52:53], v[58:59]
	v_add_f32_e32 v12, v56, v1
	v_add_f32_e32 v13, v15, v3
	ds_write2_b64 v40, v[52:53], v[12:13] offset1:90
	v_sub_f32_e32 v12, v56, v1
	v_mov_b32_e32 v1, v5
	v_mul_u32_u24_e32 v4, 0x10e0, v46
	v_lshlrev_b32_e32 v5, 3, v49
	v_add3_u32 v39, 0, v4, v5
	v_mul_u32_u24_e32 v4, 0x10e0, v47
	v_lshlrev_b32_e32 v5, 3, v48
	v_sub_f32_e32 v13, v15, v3
	v_add3_u32 v44, 0, v4, v5
	v_pk_add_f32 v[4:5], v[50:51], v[54:55] neg_lo:[0,1] neg_hi:[0,1]
	v_add_u32_e32 v14, 0x800, v40
	ds_write2_b64 v14, v[12:13], v[4:5] offset0:104 offset1:194
	v_pk_add_f32 v[14:15], v[32:33], v[136:137]
	v_pk_add_f32 v[4:5], v[28:29], v[32:33]
	v_pk_fma_f32 v[14:15], v[14:15], 0.5, v[28:29] op_sel_hi:[1,0,1] neg_lo:[1,0,0] neg_hi:[1,0,0]
	v_pk_add_f32 v[28:29], v[32:33], v[136:137] neg_lo:[0,1] neg_hi:[0,1]
	v_mov_b32_e32 v3, v7
	v_pk_mul_f32 v[28:29], v[28:29], s[4:5] op_sel_hi:[1,0]
	v_pk_add_f32 v[12:13], v[30:31], v[138:139]
	v_pk_add_f32 v[32:33], v[28:29], v[14:15] op_sel:[1,0] op_sel_hi:[0,1]
	v_pk_add_f32 v[14:15], v[14:15], v[28:29] op_sel:[0,1] op_sel_hi:[1,0] neg_lo:[0,1] neg_hi:[0,1]
	v_pk_add_f32 v[28:29], v[138:139], v[2:3]
	v_pk_add_f32 v[12:13], v[12:13], v[2:3]
	v_pk_fma_f32 v[28:29], v[28:29], 0.5, v[30:31] op_sel_hi:[1,0,1] neg_lo:[1,0,0] neg_hi:[1,0,0]
	v_pk_add_f32 v[2:3], v[138:139], v[2:3] neg_lo:[0,1] neg_hi:[0,1]
	v_pk_add_f32 v[4:5], v[4:5], v[136:137]
	v_pk_fma_f32 v[30:31], v[2:3], s[4:5], v[28:29] op_sel:[0,0,1] op_sel_hi:[1,0,0]
	v_pk_fma_f32 v[2:3], v[2:3], s[4:5], v[28:29] op_sel:[0,0,1] op_sel_hi:[1,0,0] neg_lo:[1,0,0] neg_hi:[1,0,0]
	v_pk_add_f32 v[42:43], v[42:43], v[0:1]
	v_mul_f32_e32 v40, 0x3f5db3d7, v2
	v_fmac_f32_e32 v40, 0.5, v31
	v_mul_f32_e32 v31, 0xbf5db3d7, v31
	v_fmac_f32_e32 v31, 0.5, v2
	v_mov_b32_e32 v2, v30
	v_add_f32_e32 v29, v15, v31
	v_sub_f32_e32 v41, v15, v31
	v_pk_mul_f32 v[30:31], v[2:3], 0.5 op_sel_hi:[1,0]
	v_add_f32_e32 v28, v32, v40
	v_sub_f32_e32 v40, v32, v40
	v_mov_b32_e32 v32, v14
	v_pk_fma_f32 v[2:3], v[2:3], s[4:5], v[30:31] op_sel:[0,0,1] op_sel_hi:[1,1,0] neg_lo:[0,0,1] neg_hi:[0,0,1]
	v_pk_add_f32 v[30:31], v[4:5], v[12:13]
	ds_write2_b64 v39, v[30:31], v[28:29] offset1:90
	v_pk_add_f32 v[28:29], v[32:33], v[2:3]
	v_pk_add_f32 v[4:5], v[4:5], v[12:13] neg_lo:[0,1] neg_hi:[0,1]
	v_add_u32_e32 v12, 0x400, v39
	ds_write2_b64 v12, v[28:29], v[4:5] offset0:52 offset1:142
	v_pk_add_f32 v[2:3], v[32:33], v[2:3] neg_lo:[0,1] neg_hi:[0,1]
	v_add_u32_e32 v4, 0x800, v39
	ds_write2_b64 v4, v[40:41], v[2:3] offset0:104 offset1:194
	v_pk_add_f32 v[2:3], v[10:11], v[36:37]
	v_pk_add_f32 v[4:5], v[10:11], v[36:37] neg_lo:[0,1] neg_hi:[0,1]
	v_pk_add_f32 v[12:13], v[34:35], v[0:1]
	v_pk_fma_f32 v[2:3], v[2:3], 0.5, v[122:123] op_sel_hi:[1,0,1] neg_lo:[1,0,0] neg_hi:[1,0,0]
	v_pk_mul_f32 v[4:5], v[4:5], s[4:5] op_sel_hi:[1,0]
	v_pk_fma_f32 v[8:9], v[12:13], 0.5, v[8:9] op_sel_hi:[1,0,1] neg_lo:[1,0,0] neg_hi:[1,0,0]
	v_pk_add_f32 v[0:1], v[34:35], v[0:1] neg_lo:[0,1] neg_hi:[0,1]
	v_pk_add_f32 v[6:7], v[122:123], v[10:11]
	v_pk_add_f32 v[10:11], v[4:5], v[2:3] op_sel:[1,0] op_sel_hi:[0,1]
	v_pk_fma_f32 v[12:13], v[0:1], s[4:5], v[8:9] op_sel:[0,0,1] op_sel_hi:[1,0,0]
	v_pk_fma_f32 v[0:1], v[0:1], s[4:5], v[8:9] op_sel:[0,0,1] op_sel_hi:[1,0,0] neg_lo:[1,0,0] neg_hi:[1,0,0]
	v_pk_add_f32 v[2:3], v[2:3], v[4:5] op_sel:[0,1] op_sel_hi:[1,0] neg_lo:[0,1] neg_hi:[0,1]
	v_mov_b32_e32 v5, v11
	v_mov_b32_e32 v8, v12
	v_mov_b32_e32 v9, v1
	v_mul_f32_e32 v11, 0xbf5db3d7, v13
	v_mov_b32_e32 v4, v2
	v_mul_f32_e32 v2, 0x3f5db3d7, v0
	v_fmac_f32_e32 v11, 0.5, v0
	v_pk_mul_f32 v[0:1], v[8:9], 0.5 op_sel_hi:[1,0]
	v_fmac_f32_e32 v2, 0.5, v13
	v_pk_fma_f32 v[0:1], v[8:9], s[4:5], v[0:1] op_sel:[0,0,1] op_sel_hi:[1,1,0] neg_lo:[0,0,1] neg_hi:[0,0,1]
	v_add_f32_e32 v12, v10, v2
	v_add_f32_e32 v13, v3, v11
	v_pk_add_f32 v[8:9], v[4:5], v[0:1]
	v_sub_f32_e32 v2, v10, v2
	v_sub_f32_e32 v3, v3, v11
	v_pk_add_f32 v[0:1], v[4:5], v[0:1] neg_lo:[0,1] neg_hi:[0,1]
	v_add_u32_e32 v4, 0x800, v44
	v_pk_add_f32 v[6:7], v[6:7], v[36:37]
	ds_write2_b64 v4, v[2:3], v[0:1] offset0:104 offset1:194
	v_mul_u32_u24_e32 v0, 5, v18
	v_pk_add_f32 v[14:15], v[6:7], v[42:43]
	v_pk_add_f32 v[6:7], v[6:7], v[42:43] neg_lo:[0,1] neg_hi:[0,1]
	v_add_u32_e32 v10, 0x400, v44
	v_lshlrev_b32_e32 v0, 3, v0
	v_mov_b32_e32 v1, v23
	ds_write2_b64 v10, v[8:9], v[6:7] offset0:52 offset1:142
	v_lshl_add_u64 v[8:9], s[8:9], 0, v[0:1]
	v_add_co_u32_e32 v0, vcc, s11, v8
	ds_write2_b64 v44, v[14:15], v[12:13] offset1:90
	s_nop 0
	v_addc_co_u32_e32 v1, vcc, 0, v9, vcc
	s_waitcnt lgkmcnt(0)
	s_barrier
	global_load_dwordx4 v[0:3], v[0:1], off offset:200
	v_add_co_u32_e32 v4, vcc, s13, v8
	v_mul_u32_u24_e32 v10, 5, v22
	s_nop 0
	v_addc_co_u32_e32 v5, vcc, 0, v9, vcc
	global_load_dwordx4 v[4:7], v[4:5], off offset:424
	v_lshlrev_b32_e32 v22, 3, v10
	v_lshl_add_u64 v[14:15], s[8:9], 0, v[22:23]
	v_add_co_u32_e32 v10, vcc, s11, v14
	v_mul_u32_u24_e32 v22, 5, v24
	s_nop 0
	v_addc_co_u32_e32 v11, vcc, 0, v15, vcc
	global_load_dwordx4 v[10:13], v[10:11], off offset:200
	v_lshlrev_b32_e32 v22, 3, v22
	v_lshl_add_u64 v[36:37], s[8:9], 0, v[22:23]
	v_add_co_u32_e32 v28, vcc, s11, v36
	v_mul_u32_u24_e32 v22, 5, v26
	s_nop 0
	v_addc_co_u32_e32 v29, vcc, 0, v37, vcc
	v_lshlrev_b32_e32 v22, 3, v22
	global_load_dwordx4 v[28:31], v[28:29], off offset:200
	v_lshl_add_u64 v[56:57], s[8:9], 0, v[22:23]
	v_add_co_u32_e32 v32, vcc, s11, v56
	s_mov_b64 s[8:9], 0x10c8
	s_nop 0
	v_addc_co_u32_e32 v33, vcc, 0, v57, vcc
	global_load_dwordx4 v[32:35], v[32:33], off offset:200
	v_lshl_add_u64 v[64:65], v[8:9], 0, s[8:9]
	global_load_dwordx4 v[40:43], v[64:65], off offset:16
	s_mov_b64 s[10:11], 0x21a8
	v_lshl_add_u64 v[66:67], v[8:9], 0, s[10:11]
	global_load_dwordx4 v[44:47], v[66:67], off offset:16
	v_lshl_add_u64 v[14:15], v[14:15], 0, s[8:9]
	global_load_dwordx4 v[48:51], v[14:15], off offset:16
	;; [unrolled: 2-line block ×4, first 2 shown]
	ds_read_b64 v[24:25], v25
	ds_read2_b64 v[60:63], v74 offset0:56 offset1:164
	ds_read_b64 v[8:9], v19
	global_load_dwordx2 v[64:65], v[64:65], off offset:32
	s_waitcnt vmcnt(10) lgkmcnt(2)
	v_pk_mul_f32 v[84:85], v[0:1], v[24:25] op_sel:[0,1]
	global_load_dwordx2 v[66:67], v[66:67], off offset:32
	v_pk_fma_f32 v[86:87], v[0:1], v[24:25], v[84:85] op_sel:[0,0,1] op_sel_hi:[1,1,0] neg_lo:[0,0,1] neg_hi:[0,0,1]
	global_load_dwordx2 v[90:91], v[14:15], off offset:32
	v_pk_fma_f32 v[84:85], v[0:1], v[24:25], v[84:85] op_sel:[0,0,1] op_sel_hi:[1,0,0]
	global_load_dwordx2 v[36:37], v[36:37], off offset:32
	s_waitcnt lgkmcnt(1)
	v_pk_mul_f32 v[0:1], v[2:3], v[60:61] op_sel:[0,1]
	global_load_dwordx2 v[68:69], v[68:69], off offset:32
	v_pk_fma_f32 v[88:89], v[2:3], v[60:61], v[0:1] op_sel:[0,0,1] op_sel_hi:[1,1,0] neg_lo:[0,0,1] neg_hi:[0,0,1]
	v_pk_fma_f32 v[60:61], v[2:3], v[60:61], v[0:1] op_sel:[0,0,1] op_sel_hi:[1,0,0]
	ds_read2_b64 v[0:3], v76 offset0:136 offset1:244
	s_waitcnt vmcnt(13)
	v_mov_b32_e32 v22, v7
	v_pk_mul_f32 v[24:25], v[62:63], v[22:23] op_sel_hi:[1,0]
	v_mov_b32_e32 v87, v85
	v_pk_fma_f32 v[92:93], v[62:63], v[6:7], v[24:25] op_sel:[0,0,1] op_sel_hi:[1,1,0] neg_lo:[0,0,1] neg_hi:[0,0,1]
	v_pk_fma_f32 v[62:63], v[62:63], v[6:7], v[24:25] op_sel:[0,0,1] op_sel_hi:[1,0,0]
	s_waitcnt lgkmcnt(0)
	v_pk_mul_f32 v[6:7], v[0:1], v[4:5] op_sel:[0,1]
	v_mov_b32_e32 v89, v61
	v_pk_fma_f32 v[94:95], v[0:1], v[4:5], v[6:7] op_sel:[0,0,1] op_sel_hi:[1,1,0] neg_lo:[0,0,1] neg_hi:[0,0,1]
	v_pk_fma_f32 v[96:97], v[0:1], v[4:5], v[6:7] op_sel:[0,0,1] op_sel_hi:[1,0,0]
	ds_read2_b64 v[4:7], v77 offset0:16 offset1:124
	s_waitcnt vmcnt(12)
	v_pk_mul_f32 v[0:1], v[2:3], v[10:11] op_sel:[0,1]
	v_mov_b32_e32 v95, v97
	v_pk_fma_f32 v[24:25], v[2:3], v[10:11], v[0:1] op_sel:[0,0,1] op_sel_hi:[1,1,0] neg_lo:[0,0,1] neg_hi:[0,0,1]
	v_pk_fma_f32 v[98:99], v[2:3], v[10:11], v[0:1] op_sel:[0,0,1] op_sel_hi:[1,0,0]
	v_mov_b32_e32 v0, v13
	s_waitcnt lgkmcnt(0)
	v_pk_mul_f32 v[0:1], v[4:5], v[0:1] op_sel_hi:[1,0]
	v_mov_b32_e32 v93, v63
	v_pk_fma_f32 v[100:101], v[4:5], v[12:13], v[0:1] op_sel:[0,0,1] op_sel_hi:[1,1,0] neg_lo:[0,0,1] neg_hi:[0,0,1]
	v_pk_fma_f32 v[102:103], v[4:5], v[12:13], v[0:1] op_sel:[0,0,1] op_sel_hi:[1,0,0]
	ds_read2_b64 v[0:3], v83 offset0:96 offset1:204
	s_waitcnt vmcnt(11)
	v_mov_b32_e32 v4, v31
	ds_read2_b64 v[12:15], v79 offset0:104 offset1:212
	v_pk_mul_f32 v[4:5], v[6:7], v[4:5] op_sel_hi:[1,0]
	v_mov_b32_e32 v25, v99
	v_pk_fma_f32 v[10:11], v[6:7], v[30:31], v[4:5] op_sel:[0,0,1] op_sel_hi:[1,1,0] neg_lo:[0,0,1] neg_hi:[0,0,1]
	v_pk_fma_f32 v[104:105], v[6:7], v[30:31], v[4:5] op_sel:[0,0,1] op_sel_hi:[1,0,0]
	s_waitcnt lgkmcnt(1)
	v_pk_mul_f32 v[6:7], v[0:1], v[28:29] op_sel:[0,1]
	v_mov_b32_e32 v101, v103
	v_pk_fma_f32 v[4:5], v[0:1], v[28:29], v[6:7] op_sel:[0,0,1] op_sel_hi:[1,1,0] neg_lo:[0,0,1] neg_hi:[0,0,1]
	v_pk_fma_f32 v[106:107], v[0:1], v[28:29], v[6:7] op_sel:[0,0,1] op_sel_hi:[1,0,0]
	s_waitcnt vmcnt(10)
	v_pk_mul_f32 v[6:7], v[2:3], v[32:33] op_sel:[0,1]
	ds_read2_b64 v[28:31], v73 offset0:112 offset1:220
	v_pk_fma_f32 v[0:1], v[2:3], v[32:33], v[6:7] op_sel:[0,0,1] op_sel_hi:[1,1,0] neg_lo:[0,0,1] neg_hi:[0,0,1]
	v_pk_fma_f32 v[108:109], v[2:3], v[32:33], v[6:7] op_sel:[0,0,1] op_sel_hi:[1,0,0]
	v_mov_b32_e32 v2, v35
	s_waitcnt lgkmcnt(1)
	v_pk_mul_f32 v[6:7], v[12:13], v[2:3] op_sel_hi:[1,0]
	v_mov_b32_e32 v11, v105
	v_pk_fma_f32 v[2:3], v[12:13], v[34:35], v[6:7] op_sel:[0,0,1] op_sel_hi:[1,1,0] neg_lo:[0,0,1] neg_hi:[0,0,1]
	v_pk_fma_f32 v[110:111], v[12:13], v[34:35], v[6:7] op_sel:[0,0,1] op_sel_hi:[1,0,0]
	s_waitcnt vmcnt(9)
	v_pk_mul_f32 v[6:7], v[40:41], v[14:15] op_sel:[0,1]
	ds_read2_b64 v[32:35], v78 offset0:120 offset1:228
	v_pk_fma_f32 v[112:113], v[40:41], v[14:15], v[6:7] op_sel:[0,0,1] op_sel_hi:[1,1,0] neg_lo:[0,0,1] neg_hi:[0,0,1]
	v_pk_fma_f32 v[40:41], v[40:41], v[14:15], v[6:7] op_sel:[0,0,1] op_sel_hi:[1,0,0]
	ds_read2_b64 v[12:15], v81 offset0:64 offset1:172
	v_mov_b32_e32 v6, v43
	s_waitcnt lgkmcnt(2)
	v_pk_mul_f32 v[6:7], v[28:29], v[6:7] op_sel_hi:[1,0]
	v_mov_b32_e32 v113, v41
	v_pk_fma_f32 v[114:115], v[28:29], v[42:43], v[6:7] op_sel:[0,0,1] op_sel_hi:[1,1,0] neg_lo:[0,0,1] neg_hi:[0,0,1]
	v_pk_fma_f32 v[42:43], v[28:29], v[42:43], v[6:7] op_sel:[0,0,1] op_sel_hi:[1,0,0]
	s_waitcnt vmcnt(8)
	v_mov_b32_e32 v6, v47
	ds_read2_b64 v[26:29], v27 offset0:72 offset1:180
	v_pk_mul_f32 v[6:7], v[30:31], v[6:7] op_sel_hi:[1,0]
	v_mov_b32_e32 v115, v43
	v_pk_fma_f32 v[116:117], v[30:31], v[46:47], v[6:7] op_sel:[0,0,1] op_sel_hi:[1,1,0] neg_lo:[0,0,1] neg_hi:[0,0,1]
	v_pk_fma_f32 v[46:47], v[30:31], v[46:47], v[6:7] op_sel:[0,0,1] op_sel_hi:[1,0,0]
	s_waitcnt lgkmcnt(1)
	v_pk_mul_f32 v[6:7], v[12:13], v[44:45] op_sel:[0,1]
	v_mov_b32_e32 v117, v47
	v_pk_fma_f32 v[118:119], v[12:13], v[44:45], v[6:7] op_sel:[0,0,1] op_sel_hi:[1,1,0] neg_lo:[0,0,1] neg_hi:[0,0,1]
	v_pk_fma_f32 v[44:45], v[12:13], v[44:45], v[6:7] op_sel:[0,0,1] op_sel_hi:[1,0,0]
	s_waitcnt vmcnt(7)
	v_pk_mul_f32 v[6:7], v[14:15], v[48:49] op_sel:[0,1]
	v_mov_b32_e32 v119, v45
	v_pk_fma_f32 v[120:121], v[14:15], v[48:49], v[6:7] op_sel:[0,0,1] op_sel_hi:[1,1,0] neg_lo:[0,0,1] neg_hi:[0,0,1]
	v_pk_fma_f32 v[48:49], v[14:15], v[48:49], v[6:7] op_sel:[0,0,1] op_sel_hi:[1,0,0]
	v_mov_b32_e32 v6, v51
	s_waitcnt lgkmcnt(0)
	v_pk_mul_f32 v[6:7], v[26:27], v[6:7] op_sel_hi:[1,0]
	ds_read2_b64 v[12:15], v82 offset0:24 offset1:132
	v_pk_fma_f32 v[122:123], v[26:27], v[50:51], v[6:7] op_sel:[0,0,1] op_sel_hi:[1,1,0] neg_lo:[0,0,1] neg_hi:[0,0,1]
	v_pk_fma_f32 v[50:51], v[26:27], v[50:51], v[6:7] op_sel:[0,0,1] op_sel_hi:[1,0,0]
	s_waitcnt vmcnt(6)
	v_mov_b32_e32 v6, v55
	v_pk_mul_f32 v[6:7], v[28:29], v[6:7] op_sel_hi:[1,0]
	v_pk_add_f32 v[40:41], v[86:87], v[112:113]
	v_pk_fma_f32 v[82:83], v[28:29], v[54:55], v[6:7] op_sel:[0,0,1] op_sel_hi:[1,1,0] neg_lo:[0,0,1] neg_hi:[0,0,1]
	v_pk_fma_f32 v[54:55], v[28:29], v[54:55], v[6:7] op_sel:[0,0,1] op_sel_hi:[1,0,0]
	ds_read2_b64 v[28:31], v75 offset0:32 offset1:140
	s_waitcnt lgkmcnt(1)
	v_pk_mul_f32 v[6:7], v[12:13], v[52:53] op_sel:[0,1]
	v_pk_add_f32 v[44:45], v[94:95], v[118:119]
	v_pk_fma_f32 v[26:27], v[12:13], v[52:53], v[6:7] op_sel:[0,0,1] op_sel_hi:[1,1,0] neg_lo:[0,0,1] neg_hi:[0,0,1]
	v_pk_fma_f32 v[52:53], v[12:13], v[52:53], v[6:7] op_sel:[0,0,1] op_sel_hi:[1,0,0]
	s_waitcnt vmcnt(5)
	v_pk_mul_f32 v[12:13], v[14:15], v[56:57] op_sel:[0,1]
	v_mov_b32_e32 v121, v49
	v_pk_fma_f32 v[6:7], v[14:15], v[56:57], v[12:13] op_sel:[0,0,1] op_sel_hi:[1,1,0] neg_lo:[0,0,1] neg_hi:[0,0,1]
	v_pk_fma_f32 v[56:57], v[14:15], v[56:57], v[12:13] op_sel:[0,0,1] op_sel_hi:[1,0,0]
	v_mov_b32_e32 v12, v59
	s_waitcnt lgkmcnt(0)
	v_pk_mul_f32 v[14:15], v[28:29], v[12:13] op_sel_hi:[1,0]
	v_mov_b32_e32 v123, v51
	v_pk_fma_f32 v[12:13], v[28:29], v[58:59], v[14:15] op_sel:[0,0,1] op_sel_hi:[1,1,0] neg_lo:[0,0,1] neg_hi:[0,0,1]
	v_pk_fma_f32 v[58:59], v[28:29], v[58:59], v[14:15] op_sel:[0,0,1] op_sel_hi:[1,0,0]
	s_waitcnt vmcnt(4)
	v_pk_mul_f32 v[14:15], v[30:31], v[64:65] op_sel:[0,1]
	v_mov_b32_e32 v27, v53
	v_pk_fma_f32 v[78:79], v[30:31], v[64:65], v[14:15] op_sel:[0,0,1] op_sel_hi:[1,1,0] neg_lo:[0,0,1] neg_hi:[0,0,1]
	v_pk_fma_f32 v[64:65], v[30:31], v[64:65], v[14:15] op_sel:[0,0,1] op_sel_hi:[1,0,0]
	ds_read2_b64 v[28:31], v80 offset0:80 offset1:188
	s_waitcnt vmcnt(3)
	v_pk_mul_f32 v[14:15], v[32:33], v[66:67] op_sel:[0,1]
	v_mov_b32_e32 v79, v65
	v_pk_fma_f32 v[124:125], v[32:33], v[66:67], v[14:15] op_sel:[0,0,1] op_sel_hi:[1,1,0] neg_lo:[0,0,1] neg_hi:[0,0,1]
	v_pk_fma_f32 v[32:33], v[32:33], v[66:67], v[14:15] op_sel:[0,0,1] op_sel_hi:[1,0,0]
	s_waitcnt vmcnt(2)
	v_pk_mul_f32 v[14:15], v[34:35], v[90:91] op_sel:[0,1]
	v_mov_b32_e32 v125, v33
	v_pk_fma_f32 v[66:67], v[34:35], v[90:91], v[14:15] op_sel:[0,0,1] op_sel_hi:[1,1,0] neg_lo:[0,0,1] neg_hi:[0,0,1]
	v_pk_fma_f32 v[34:35], v[34:35], v[90:91], v[14:15] op_sel:[0,0,1] op_sel_hi:[1,0,0]
	s_waitcnt vmcnt(1) lgkmcnt(0)
	v_pk_mul_f32 v[14:15], v[28:29], v[36:37] op_sel:[0,1]
	v_pk_add_f32 v[40:41], v[40:41], v[78:79]
	v_pk_fma_f32 v[80:81], v[28:29], v[36:37], v[14:15] op_sel:[0,0,1] op_sel_hi:[1,1,0] neg_lo:[0,0,1] neg_hi:[0,0,1]
	v_pk_fma_f32 v[36:37], v[28:29], v[36:37], v[14:15] op_sel:[0,0,1] op_sel_hi:[1,0,0]
	s_waitcnt vmcnt(0)
	v_pk_mul_f32 v[28:29], v[30:31], v[68:69] op_sel:[0,1]
	v_pk_add_f32 v[44:45], v[44:45], v[124:125]
	v_pk_fma_f32 v[14:15], v[30:31], v[68:69], v[28:29] op_sel:[0,0,1] op_sel_hi:[1,1,0] neg_lo:[0,0,1] neg_hi:[0,0,1]
	v_pk_fma_f32 v[68:69], v[30:31], v[68:69], v[28:29] op_sel:[0,0,1] op_sel_hi:[1,0,0]
	ds_read2_b64 v[28:31], v70 offset1:108
	ds_read_b64 v[46:47], v72
	ds_read_b64 v[60:61], v71
	s_waitcnt lgkmcnt(0)
	s_barrier
	v_pk_add_f32 v[32:33], v[28:29], v[88:89]
	v_pk_add_f32 v[42:43], v[30:31], v[92:93]
	;; [unrolled: 1-line block ×6, first 2 shown]
	ds_write2_b64 v70, v[62:63], v[64:65] offset1:108
	v_pk_add_f32 v[62:63], v[88:89], v[114:115]
	v_mov_b32_e32 v67, v35
	v_pk_fma_f32 v[28:29], v[62:63], 0.5, v[28:29] op_sel_hi:[1,0,1] neg_lo:[1,0,0] neg_hi:[1,0,0]
	v_pk_add_f32 v[62:63], v[92:93], v[116:117]
	v_pk_add_f32 v[32:33], v[32:33], v[40:41] neg_lo:[0,1] neg_hi:[0,1]
	v_pk_fma_f32 v[30:31], v[62:63], 0.5, v[30:31] op_sel_hi:[1,0,1] neg_lo:[1,0,0] neg_hi:[1,0,0]
	v_pk_add_f32 v[62:63], v[88:89], v[114:115] neg_lo:[0,1] neg_hi:[0,1]
	v_pk_add_f32 v[88:89], v[118:119], v[124:125] neg_lo:[0,1] neg_hi:[0,1]
	v_pk_mul_f32 v[62:63], v[62:63], s[4:5] op_sel_hi:[1,0]
	v_pk_add_f32 v[40:41], v[42:43], v[44:45] neg_lo:[0,1] neg_hi:[0,1]
	v_pk_add_f32 v[64:65], v[62:63], v[28:29] op_sel:[1,0] op_sel_hi:[0,1]
	v_pk_add_f32 v[28:29], v[28:29], v[62:63] op_sel:[0,1] op_sel_hi:[1,0] neg_lo:[0,1] neg_hi:[0,1]
	v_pk_add_f32 v[62:63], v[112:113], v[78:79]
	v_pk_add_f32 v[78:79], v[112:113], v[78:79] neg_lo:[0,1] neg_hi:[0,1]
	v_pk_fma_f32 v[62:63], v[62:63], 0.5, v[86:87] op_sel_hi:[1,0,1] neg_lo:[1,0,0] neg_hi:[1,0,0]
	ds_write2_b64 v38, v[32:33], v[40:41] offset0:84 offset1:192
	v_pk_fma_f32 v[84:85], v[78:79], s[4:5], v[62:63] op_sel:[0,0,1] op_sel_hi:[1,0,0]
	v_pk_fma_f32 v[62:63], v[78:79], s[4:5], v[62:63] op_sel:[0,0,1] op_sel_hi:[1,0,0] neg_lo:[1,0,0] neg_hi:[1,0,0]
	v_pk_add_f32 v[78:79], v[92:93], v[116:117] neg_lo:[0,1] neg_hi:[0,1]
	v_mul_f32_e32 v1, 0x3f5db3d7, v62
	v_pk_mul_f32 v[78:79], v[78:79], s[4:5] op_sel_hi:[1,0]
	v_mul_f32_e32 v3, 0xbf5db3d7, v85
	v_pk_add_f32 v[86:87], v[78:79], v[30:31] op_sel:[1,0] op_sel_hi:[0,1]
	v_pk_add_f32 v[30:31], v[30:31], v[78:79] op_sel:[0,1] op_sel_hi:[1,0] neg_lo:[0,1] neg_hi:[0,1]
	v_pk_add_f32 v[78:79], v[118:119], v[124:125]
	v_fmac_f32_e32 v1, 0.5, v85
	v_pk_fma_f32 v[78:79], v[78:79], 0.5, v[94:95] op_sel_hi:[1,0,1] neg_lo:[1,0,0] neg_hi:[1,0,0]
	v_fmac_f32_e32 v3, 0.5, v62
	v_pk_fma_f32 v[90:91], v[88:89], s[4:5], v[78:79] op_sel:[0,0,1] op_sel_hi:[1,0,0]
	v_pk_fma_f32 v[78:79], v[88:89], s[4:5], v[78:79] op_sel:[0,0,1] op_sel_hi:[1,0,0] neg_lo:[1,0,0] neg_hi:[1,0,0]
	v_mul_f32_e32 v7, 0xbf5db3d7, v91
	v_mul_f32_e32 v5, 0x3f5db3d7, v78
	v_fmac_f32_e32 v5, 0.5, v91
	v_fmac_f32_e32 v7, 0.5, v78
	v_add_f32_e32 v88, v64, v1
	v_add_f32_e32 v89, v29, v3
	;; [unrolled: 1-line block ×4, first 2 shown]
	v_mov_b32_e32 v62, v84
	ds_write2_b64 v76, v[88:89], v[92:93] offset0:28 offset1:136
	v_pk_mul_f32 v[76:77], v[62:63], 0.5 op_sel_hi:[1,0]
	v_mov_b32_e32 v78, v90
	v_pk_fma_f32 v[62:63], v[62:63], s[4:5], v[76:77] op_sel:[0,0,1] op_sel_hi:[1,1,0] neg_lo:[0,0,1] neg_hi:[0,0,1]
	v_pk_mul_f32 v[76:77], v[78:79], 0.5 op_sel_hi:[1,0]
	v_mov_b32_e32 v84, v30
	v_pk_fma_f32 v[76:77], v[78:79], s[4:5], v[76:77] op_sel:[0,0,1] op_sel_hi:[1,1,0] neg_lo:[0,0,1] neg_hi:[0,0,1]
	v_mov_b32_e32 v78, v28
	v_sub_f32_e32 v28, v64, v1
	v_sub_f32_e32 v29, v29, v3
	;; [unrolled: 1-line block ×4, first 2 shown]
	ds_write2_b64 v73, v[28:29], v[30:31] offset0:112 offset1:220
	v_pk_add_f32 v[28:29], v[46:47], v[100:101]
	v_pk_add_f32 v[30:31], v[24:25], v[120:121]
	v_mov_b32_e32 v79, v65
	v_mov_b32_e32 v85, v87
	v_pk_add_f32 v[28:29], v[28:29], v[122:123]
	v_pk_add_f32 v[30:31], v[30:31], v[66:67]
	;; [unrolled: 1-line block ×4, first 2 shown]
	v_mov_b32_e32 v81, v37
	v_pk_add_f32 v[32:33], v[28:29], v[30:31]
	v_pk_add_f32 v[36:37], v[78:79], v[62:63] neg_lo:[0,1] neg_hi:[0,1]
	v_pk_add_f32 v[40:41], v[84:85], v[76:77] neg_lo:[0,1] neg_hi:[0,1]
	ds_write2_b64 v74, v[88:89], v[90:91] offset0:56 offset1:164
	ds_write2_b64 v75, v[36:37], v[40:41] offset0:140 offset1:248
	ds_write_b64 v72, v[32:33]
	v_pk_add_f32 v[32:33], v[100:101], v[122:123]
	v_pk_add_f32 v[50:51], v[120:121], v[66:67] neg_lo:[0,1] neg_hi:[0,1]
	v_pk_fma_f32 v[32:33], v[32:33], 0.5, v[46:47] op_sel_hi:[1,0,1] neg_lo:[1,0,0] neg_hi:[1,0,0]
	v_pk_add_f32 v[46:47], v[100:101], v[122:123] neg_lo:[0,1] neg_hi:[0,1]
	v_mov_b32_e32 v5, v107
	v_pk_mul_f32 v[46:47], v[46:47], s[4:5] op_sel_hi:[1,0]
	v_mov_b32_e32 v83, v55
	v_pk_add_f32 v[48:49], v[46:47], v[32:33] op_sel:[1,0] op_sel_hi:[0,1]
	v_pk_add_f32 v[32:33], v[32:33], v[46:47] op_sel:[0,1] op_sel_hi:[1,0] neg_lo:[0,1] neg_hi:[0,1]
	v_pk_add_f32 v[46:47], v[120:121], v[66:67]
	v_pk_add_f32 v[34:35], v[60:61], v[10:11]
	v_pk_fma_f32 v[24:25], v[46:47], 0.5, v[24:25] op_sel_hi:[1,0,1] neg_lo:[1,0,0] neg_hi:[1,0,0]
	v_pk_add_f32 v[38:39], v[4:5], v[26:27]
	v_pk_fma_f32 v[52:53], v[50:51], s[4:5], v[24:25] op_sel:[0,0,1] op_sel_hi:[1,0,0]
	v_pk_fma_f32 v[24:25], v[50:51], s[4:5], v[24:25] op_sel:[0,0,1] op_sel_hi:[1,0,0] neg_lo:[1,0,0] neg_hi:[1,0,0]
	v_mov_b32_e32 v50, v52
	v_mov_b32_e32 v51, v25
	v_mul_f32_e32 v52, 0xbf5db3d7, v53
	v_mul_f32_e32 v22, 0x3f5db3d7, v24
	v_fmac_f32_e32 v52, 0.5, v24
	v_pk_mul_f32 v[24:25], v[50:51], 0.5 op_sel_hi:[1,0]
	v_mov_b32_e32 v46, v32
	v_mov_b32_e32 v47, v49
	v_fmac_f32_e32 v22, 0.5, v53
	v_pk_fma_f32 v[24:25], v[50:51], s[4:5], v[24:25] op_sel:[0,0,1] op_sel_hi:[1,1,0] neg_lo:[0,0,1] neg_hi:[0,0,1]
	v_pk_add_f32 v[34:35], v[34:35], v[82:83]
	v_pk_add_f32 v[38:39], v[38:39], v[80:81]
	v_add_f32_e32 v50, v48, v22
	v_add_f32_e32 v51, v33, v52
	v_sub_f32_e32 v32, v48, v22
	v_pk_add_f32 v[48:49], v[46:47], v[24:25]
	v_pk_add_f32 v[28:29], v[28:29], v[30:31] neg_lo:[0,1] neg_hi:[0,1]
	v_pk_add_f32 v[24:25], v[46:47], v[24:25] neg_lo:[0,1] neg_hi:[0,1]
	v_pk_add_f32 v[30:31], v[26:27], v[80:81]
	v_pk_add_f32 v[42:43], v[34:35], v[38:39]
	v_sub_f32_e32 v33, v33, v52
	ds_write_b64 v72, v[50:51] offset:4320
	ds_write_b64 v72, v[48:49] offset:8640
	;; [unrolled: 1-line block ×5, first 2 shown]
	ds_write_b64 v71, v[42:43]
	v_pk_add_f32 v[24:25], v[10:11], v[82:83]
	v_pk_add_f32 v[10:11], v[10:11], v[82:83] neg_lo:[0,1] neg_hi:[0,1]
	v_pk_fma_f32 v[4:5], v[30:31], 0.5, v[4:5] op_sel_hi:[1,0,1] neg_lo:[1,0,0] neg_hi:[1,0,0]
	v_pk_add_f32 v[26:27], v[26:27], v[80:81] neg_lo:[0,1] neg_hi:[0,1]
	v_pk_fma_f32 v[24:25], v[24:25], 0.5, v[60:61] op_sel_hi:[1,0,1] neg_lo:[1,0,0] neg_hi:[1,0,0]
	v_pk_mul_f32 v[10:11], v[10:11], s[4:5] op_sel_hi:[1,0]
	v_pk_fma_f32 v[30:31], v[26:27], s[4:5], v[4:5] op_sel:[0,0,1] op_sel_hi:[1,0,0]
	v_pk_fma_f32 v[4:5], v[26:27], s[4:5], v[4:5] op_sel:[0,0,1] op_sel_hi:[1,0,0] neg_lo:[1,0,0] neg_hi:[1,0,0]
	v_pk_add_f32 v[28:29], v[10:11], v[24:25] op_sel:[1,0] op_sel_hi:[0,1]
	v_pk_add_f32 v[10:11], v[24:25], v[10:11] op_sel:[0,1] op_sel_hi:[1,0] neg_lo:[0,1] neg_hi:[0,1]
	v_mov_b32_e32 v26, v30
	v_mov_b32_e32 v27, v5
	v_mul_f32_e32 v22, 0xbf5db3d7, v31
	v_mov_b32_e32 v24, v10
	v_mul_f32_e32 v10, 0x3f5db3d7, v4
	v_fmac_f32_e32 v22, 0.5, v4
	v_pk_mul_f32 v[4:5], v[26:27], 0.5 op_sel_hi:[1,0]
	v_mov_b32_e32 v1, v109
	v_mov_b32_e32 v3, v111
	;; [unrolled: 1-line block ×4, first 2 shown]
	v_fmac_f32_e32 v10, 0.5, v31
	v_pk_fma_f32 v[4:5], v[26:27], s[4:5], v[4:5] op_sel:[0,0,1] op_sel_hi:[1,1,0] neg_lo:[0,0,1] neg_hi:[0,0,1]
	v_mov_b32_e32 v13, v59
	v_mov_b32_e32 v15, v69
	v_pk_add_f32 v[36:37], v[8:9], v[2:3]
	v_pk_add_f32 v[40:41], v[0:1], v[6:7]
	v_add_f32_e32 v30, v28, v10
	v_add_f32_e32 v31, v11, v22
	v_pk_add_f32 v[26:27], v[24:25], v[4:5]
	v_pk_add_f32 v[36:37], v[36:37], v[12:13]
	;; [unrolled: 1-line block ×3, first 2 shown]
	v_sub_f32_e32 v10, v28, v10
	v_sub_f32_e32 v11, v11, v22
	ds_write_b64 v71, v[30:31] offset:4320
	ds_write_b64 v71, v[26:27] offset:8640
	v_pk_add_f32 v[26:27], v[34:35], v[38:39] neg_lo:[0,1] neg_hi:[0,1]
	v_pk_add_f32 v[4:5], v[24:25], v[4:5] neg_lo:[0,1] neg_hi:[0,1]
	v_pk_add_f32 v[44:45], v[36:37], v[40:41]
	ds_write_b64 v71, v[26:27] offset:12960
	ds_write_b64 v71, v[10:11] offset:17280
	;; [unrolled: 1-line block ×3, first 2 shown]
	ds_write_b64 v19, v[44:45]
	v_pk_add_f32 v[4:5], v[2:3], v[12:13]
	v_pk_add_f32 v[2:3], v[2:3], v[12:13] neg_lo:[0,1] neg_hi:[0,1]
	v_pk_add_f32 v[10:11], v[6:7], v[14:15]
	v_pk_fma_f32 v[4:5], v[4:5], 0.5, v[8:9] op_sel_hi:[1,0,1] neg_lo:[1,0,0] neg_hi:[1,0,0]
	v_pk_mul_f32 v[2:3], v[2:3], s[4:5] op_sel_hi:[1,0]
	v_pk_fma_f32 v[0:1], v[10:11], 0.5, v[0:1] op_sel_hi:[1,0,1] neg_lo:[1,0,0] neg_hi:[1,0,0]
	v_pk_add_f32 v[6:7], v[6:7], v[14:15] neg_lo:[0,1] neg_hi:[0,1]
	v_pk_add_f32 v[8:9], v[2:3], v[4:5] op_sel:[1,0] op_sel_hi:[0,1]
	v_pk_fma_f32 v[10:11], v[6:7], s[4:5], v[0:1] op_sel:[0,0,1] op_sel_hi:[1,0,0]
	v_pk_fma_f32 v[0:1], v[6:7], s[4:5], v[0:1] op_sel:[0,0,1] op_sel_hi:[1,0,0] neg_lo:[1,0,0] neg_hi:[1,0,0]
	v_pk_add_f32 v[2:3], v[4:5], v[2:3] op_sel:[0,1] op_sel_hi:[1,0] neg_lo:[0,1] neg_hi:[0,1]
	v_mov_b32_e32 v5, v9
	v_mov_b32_e32 v6, v10
	;; [unrolled: 1-line block ×3, first 2 shown]
	v_mul_f32_e32 v9, 0xbf5db3d7, v11
	v_mov_b32_e32 v4, v2
	v_mul_f32_e32 v2, 0x3f5db3d7, v0
	v_fmac_f32_e32 v9, 0.5, v0
	v_pk_mul_f32 v[0:1], v[6:7], 0.5 op_sel_hi:[1,0]
	v_fmac_f32_e32 v2, 0.5, v11
	v_pk_fma_f32 v[0:1], v[6:7], s[4:5], v[0:1] op_sel:[0,0,1] op_sel_hi:[1,1,0] neg_lo:[0,0,1] neg_hi:[0,0,1]
	v_add_f32_e32 v10, v8, v2
	v_add_f32_e32 v11, v3, v9
	v_pk_add_f32 v[6:7], v[4:5], v[0:1]
	ds_write_b64 v19, v[10:11] offset:4320
	ds_write_b64 v19, v[6:7] offset:8640
	v_pk_add_f32 v[6:7], v[36:37], v[40:41] neg_lo:[0,1] neg_hi:[0,1]
	v_pk_add_f32 v[0:1], v[4:5], v[0:1] neg_lo:[0,1] neg_hi:[0,1]
	v_sub_f32_e32 v2, v8, v2
	v_sub_f32_e32 v3, v3, v9
	ds_write_b64 v19, v[6:7] offset:12960
	ds_write_b64 v19, v[2:3] offset:17280
	;; [unrolled: 1-line block ×3, first 2 shown]
	s_waitcnt lgkmcnt(0)
	s_barrier
	s_and_saveexec_b64 s[4:5], s[0:1]
	s_cbranch_execz .LBB0_21
; %bb.20:
	v_mul_lo_u32 v0, s3, v20
	v_mul_lo_u32 v1, s2, v21
	v_mad_u64_u32 v[4:5], s[0:1], s2, v20, 0
	v_lshl_add_u32 v10, v18, 3, 0
	v_add3_u32 v5, v5, v1, v0
	ds_read2_b64 v[0:3], v10 offset1:108
	v_lshl_add_u64 v[4:5], v[4:5], 3, s[6:7]
	v_mov_b32_e32 v19, v23
	v_lshl_add_u64 v[8:9], v[16:17], 3, v[4:5]
	v_lshl_add_u64 v[4:5], v[18:19], 3, v[8:9]
	s_waitcnt lgkmcnt(0)
	global_store_dwordx2 v[4:5], v[0:1], off
	v_add_u32_e32 v0, 0x400, v10
	ds_read2_b64 v[4:7], v0 offset0:88 offset1:196
	v_add_u32_e32 v22, 0x6c, v18
	v_lshl_add_u64 v[0:1], v[22:23], 3, v[8:9]
	v_add_u32_e32 v22, 0xd8, v18
	global_store_dwordx2 v[0:1], v[2:3], off
	v_lshl_add_u64 v[0:1], v[22:23], 3, v[8:9]
	s_waitcnt lgkmcnt(0)
	global_store_dwordx2 v[0:1], v[4:5], off
	v_add_u32_e32 v0, 0xc00, v10
	ds_read2_b64 v[0:3], v0 offset0:48 offset1:156
	v_add_u32_e32 v22, 0x144, v18
	v_lshl_add_u64 v[4:5], v[22:23], 3, v[8:9]
	v_add_u32_e32 v22, 0x1b0, v18
	global_store_dwordx2 v[4:5], v[6:7], off
	;; [unrolled: 9-line block ×14, first 2 shown]
	v_lshl_add_u64 v[4:5], v[22:23], 3, v[8:9]
	v_add_u32_e32 v22, 0xc3c, v18
	s_waitcnt lgkmcnt(0)
	global_store_dwordx2 v[4:5], v[0:1], off
	v_lshl_add_u64 v[0:1], v[22:23], 3, v[8:9]
	global_store_dwordx2 v[0:1], v[2:3], off
.LBB0_21:
	s_endpgm
	.section	.rodata,"a",@progbits
	.p2align	6, 0x0
	.amdhsa_kernel fft_rtc_fwd_len3240_factors_3_3_10_6_6_wgs_108_tpt_108_halfLds_sp_op_CI_CI_unitstride_sbrr_C2R_dirReg
		.amdhsa_group_segment_fixed_size 0
		.amdhsa_private_segment_fixed_size 0
		.amdhsa_kernarg_size 104
		.amdhsa_user_sgpr_count 2
		.amdhsa_user_sgpr_dispatch_ptr 0
		.amdhsa_user_sgpr_queue_ptr 0
		.amdhsa_user_sgpr_kernarg_segment_ptr 1
		.amdhsa_user_sgpr_dispatch_id 0
		.amdhsa_user_sgpr_kernarg_preload_length 0
		.amdhsa_user_sgpr_kernarg_preload_offset 0
		.amdhsa_user_sgpr_private_segment_size 0
		.amdhsa_uses_dynamic_stack 0
		.amdhsa_enable_private_segment 0
		.amdhsa_system_sgpr_workgroup_id_x 1
		.amdhsa_system_sgpr_workgroup_id_y 0
		.amdhsa_system_sgpr_workgroup_id_z 0
		.amdhsa_system_sgpr_workgroup_info 0
		.amdhsa_system_vgpr_workitem_id 0
		.amdhsa_next_free_vgpr 160
		.amdhsa_next_free_sgpr 28
		.amdhsa_accum_offset 160
		.amdhsa_reserve_vcc 1
		.amdhsa_float_round_mode_32 0
		.amdhsa_float_round_mode_16_64 0
		.amdhsa_float_denorm_mode_32 3
		.amdhsa_float_denorm_mode_16_64 3
		.amdhsa_dx10_clamp 1
		.amdhsa_ieee_mode 1
		.amdhsa_fp16_overflow 0
		.amdhsa_tg_split 0
		.amdhsa_exception_fp_ieee_invalid_op 0
		.amdhsa_exception_fp_denorm_src 0
		.amdhsa_exception_fp_ieee_div_zero 0
		.amdhsa_exception_fp_ieee_overflow 0
		.amdhsa_exception_fp_ieee_underflow 0
		.amdhsa_exception_fp_ieee_inexact 0
		.amdhsa_exception_int_div_zero 0
	.end_amdhsa_kernel
	.text
.Lfunc_end0:
	.size	fft_rtc_fwd_len3240_factors_3_3_10_6_6_wgs_108_tpt_108_halfLds_sp_op_CI_CI_unitstride_sbrr_C2R_dirReg, .Lfunc_end0-fft_rtc_fwd_len3240_factors_3_3_10_6_6_wgs_108_tpt_108_halfLds_sp_op_CI_CI_unitstride_sbrr_C2R_dirReg
                                        ; -- End function
	.section	.AMDGPU.csdata,"",@progbits
; Kernel info:
; codeLenInByte = 18436
; NumSgprs: 34
; NumVgprs: 160
; NumAgprs: 0
; TotalNumVgprs: 160
; ScratchSize: 0
; MemoryBound: 0
; FloatMode: 240
; IeeeMode: 1
; LDSByteSize: 0 bytes/workgroup (compile time only)
; SGPRBlocks: 4
; VGPRBlocks: 19
; NumSGPRsForWavesPerEU: 34
; NumVGPRsForWavesPerEU: 160
; AccumOffset: 160
; Occupancy: 3
; WaveLimiterHint : 1
; COMPUTE_PGM_RSRC2:SCRATCH_EN: 0
; COMPUTE_PGM_RSRC2:USER_SGPR: 2
; COMPUTE_PGM_RSRC2:TRAP_HANDLER: 0
; COMPUTE_PGM_RSRC2:TGID_X_EN: 1
; COMPUTE_PGM_RSRC2:TGID_Y_EN: 0
; COMPUTE_PGM_RSRC2:TGID_Z_EN: 0
; COMPUTE_PGM_RSRC2:TIDIG_COMP_CNT: 0
; COMPUTE_PGM_RSRC3_GFX90A:ACCUM_OFFSET: 39
; COMPUTE_PGM_RSRC3_GFX90A:TG_SPLIT: 0
	.text
	.p2alignl 6, 3212836864
	.fill 256, 4, 3212836864
	.type	__hip_cuid_b47bc9fc46989569,@object ; @__hip_cuid_b47bc9fc46989569
	.section	.bss,"aw",@nobits
	.globl	__hip_cuid_b47bc9fc46989569
__hip_cuid_b47bc9fc46989569:
	.byte	0                               ; 0x0
	.size	__hip_cuid_b47bc9fc46989569, 1

	.ident	"AMD clang version 19.0.0git (https://github.com/RadeonOpenCompute/llvm-project roc-6.4.0 25133 c7fe45cf4b819c5991fe208aaa96edf142730f1d)"
	.section	".note.GNU-stack","",@progbits
	.addrsig
	.addrsig_sym __hip_cuid_b47bc9fc46989569
	.amdgpu_metadata
---
amdhsa.kernels:
  - .agpr_count:     0
    .args:
      - .actual_access:  read_only
        .address_space:  global
        .offset:         0
        .size:           8
        .value_kind:     global_buffer
      - .offset:         8
        .size:           8
        .value_kind:     by_value
      - .actual_access:  read_only
        .address_space:  global
        .offset:         16
        .size:           8
        .value_kind:     global_buffer
      - .actual_access:  read_only
        .address_space:  global
        .offset:         24
        .size:           8
        .value_kind:     global_buffer
      - .actual_access:  read_only
        .address_space:  global
        .offset:         32
        .size:           8
        .value_kind:     global_buffer
      - .offset:         40
        .size:           8
        .value_kind:     by_value
      - .actual_access:  read_only
        .address_space:  global
        .offset:         48
        .size:           8
        .value_kind:     global_buffer
      - .actual_access:  read_only
        .address_space:  global
        .offset:         56
        .size:           8
        .value_kind:     global_buffer
      - .offset:         64
        .size:           4
        .value_kind:     by_value
      - .actual_access:  read_only
        .address_space:  global
        .offset:         72
        .size:           8
        .value_kind:     global_buffer
      - .actual_access:  read_only
        .address_space:  global
        .offset:         80
        .size:           8
        .value_kind:     global_buffer
      - .actual_access:  read_only
        .address_space:  global
        .offset:         88
        .size:           8
        .value_kind:     global_buffer
      - .actual_access:  write_only
        .address_space:  global
        .offset:         96
        .size:           8
        .value_kind:     global_buffer
    .group_segment_fixed_size: 0
    .kernarg_segment_align: 8
    .kernarg_segment_size: 104
    .language:       OpenCL C
    .language_version:
      - 2
      - 0
    .max_flat_workgroup_size: 108
    .name:           fft_rtc_fwd_len3240_factors_3_3_10_6_6_wgs_108_tpt_108_halfLds_sp_op_CI_CI_unitstride_sbrr_C2R_dirReg
    .private_segment_fixed_size: 0
    .sgpr_count:     34
    .sgpr_spill_count: 0
    .symbol:         fft_rtc_fwd_len3240_factors_3_3_10_6_6_wgs_108_tpt_108_halfLds_sp_op_CI_CI_unitstride_sbrr_C2R_dirReg.kd
    .uniform_work_group_size: 1
    .uses_dynamic_stack: false
    .vgpr_count:     160
    .vgpr_spill_count: 0
    .wavefront_size: 64
amdhsa.target:   amdgcn-amd-amdhsa--gfx950
amdhsa.version:
  - 1
  - 2
...

	.end_amdgpu_metadata
